;; amdgpu-corpus repo=ROCm/rccl kind=compiled arch=gfx906 opt=O3
	.amdgcn_target "amdgcn-amd-amdhsa--gfx906"
	.amdhsa_code_object_version 6
	.text
	.p2align	2                               ; -- Begin function _ZN12_GLOBAL__N_17runRingI14__hip_fp8_e5m28FuncProdIS1_E7ProtoLLLi0ELi1ELi0EEEviiP15ncclDevWorkColl
	.type	_ZN12_GLOBAL__N_17runRingI14__hip_fp8_e5m28FuncProdIS1_E7ProtoLLLi0ELi1ELi0EEEviiP15ncclDevWorkColl,@function
_ZN12_GLOBAL__N_17runRingI14__hip_fp8_e5m28FuncProdIS1_E7ProtoLLLi0ELi1ELi0EEEviiP15ncclDevWorkColl: ; @_ZN12_GLOBAL__N_17runRingI14__hip_fp8_e5m28FuncProdIS1_E7ProtoLLLi0ELi1ELi0EEEviiP15ncclDevWorkColl
; %bb.0:
	s_waitcnt vmcnt(0) expcnt(0) lgkmcnt(0)
	s_or_saveexec_b64 s[4:5], -1
	buffer_store_dword v63, off, s[0:3], s32 offset:264 ; 4-byte Folded Spill
	s_mov_b64 exec, s[4:5]
	buffer_store_dword v40, off, s[0:3], s32 offset:56 ; 4-byte Folded Spill
	buffer_store_dword v41, off, s[0:3], s32 offset:52 ; 4-byte Folded Spill
	;; [unrolled: 1-line block ×14, first 2 shown]
	buffer_store_dword v62, off, s[0:3], s32 ; 4-byte Folded Spill
	v_writelane_b32 v63, s34, 0
	v_writelane_b32 v63, s35, 1
	;; [unrolled: 1-line block ×14, first 2 shown]
	s_trap 2
	flat_load_dword v6, v[2:3]
	flat_load_dwordx4 v[10:13], v[2:3] offset:72
	flat_load_dwordx2 v[18:19], v[2:3] offset:88
	v_mov_b32_e32 v9, v0
	ds_read_b32 v4, v0
	s_waitcnt lgkmcnt(0)
	v_readfirstlane_b32 s20, v4
	s_waitcnt vmcnt(0)
	v_not_b32_sdwa v5, v6 dst_sel:DWORD dst_unused:UNUSED_PAD src0_sel:BYTE_0
	v_add_u32_sdwa v0, v6, v5 dst_sel:DWORD dst_unused:UNUSED_PAD src0_sel:BYTE_1 src1_sel:DWORD
	v_mul_lo_u32 v8, v13, v0
	v_mad_u64_u32 v[20:21], s[4:5], v12, v0, 0
	buffer_store_dword v10, off, s[0:3], s32 offset:148 ; 4-byte Folded Spill
	s_nop 0
	buffer_store_dword v11, off, s[0:3], s32 offset:152 ; 4-byte Folded Spill
	buffer_store_dword v12, off, s[0:3], s32 offset:156 ; 4-byte Folded Spill
	;; [unrolled: 1-line block ×3, first 2 shown]
	v_ashrrev_i32_e32 v7, 31, v0
	v_cmp_ne_u32_sdwa s[4:5], v4, v6 src0_sel:DWORD src1_sel:BYTE_0
	v_mul_lo_u32 v0, v12, v7
	ds_read_b64 v[10:11], v0
	v_add3_u32 v0, v21, v0, v8
	s_waitcnt lgkmcnt(0)
	buffer_store_dword v10, off, s[0:3], s32 offset:68 ; 4-byte Folded Spill
	s_nop 0
	buffer_store_dword v11, off, s[0:3], s32 offset:72 ; 4-byte Folded Spill
                                        ; implicit-def: $vgpr21_vgpr22
                                        ; implicit-def: $vgpr7_vgpr8
                                        ; kill: killed $vgpr7_vgpr8
	s_and_saveexec_b64 s[6:7], s[4:5]
	s_xor_b64 s[4:5], exec, s[6:7]
	s_cbranch_execz .LBB0_6
; %bb.1:
	v_cmp_ne_u32_sdwa s[6:7], v4, v6 src0_sel:DWORD src1_sel:BYTE_1
                                        ; implicit-def: $vgpr21_vgpr22
                                        ; implicit-def: $vgpr6_vgpr7
                                        ; kill: killed $vgpr6_vgpr7
	s_and_saveexec_b64 s[10:11], s[6:7]
	s_xor_b64 s[6:7], exec, s[10:11]
	s_cbranch_execz .LBB0_3
; %bb.2:
	flat_load_dwordx2 v[6:7], v[2:3] offset:96
	buffer_load_dword v10, off, s[0:3], s32 offset:148 ; 4-byte Folded Reload
	buffer_load_dword v11, off, s[0:3], s32 offset:152 ; 4-byte Folded Reload
	;; [unrolled: 1-line block ×4, first 2 shown]
	v_add_u32_e32 v4, v4, v5
	v_ashrrev_i32_e32 v5, 31, v4
	s_waitcnt vmcnt(0)
	v_mul_lo_u32 v5, v12, v5
	v_mul_lo_u32 v8, v13, v4
	v_mad_u64_u32 v[10:11], s[10:11], v12, v4, v[10:11]
	s_waitcnt lgkmcnt(0)
	v_lshrrev_b64 v[21:22], 17, v[6:7]
	v_add3_u32 v11, v8, v11, v5
	buffer_store_dword v10, off, s[0:3], s32 offset:164 ; 4-byte Folded Spill
	s_nop 0
	buffer_store_dword v11, off, s[0:3], s32 offset:168 ; 4-byte Folded Spill
.LBB0_3:
	s_andn2_saveexec_b64 s[6:7], s[6:7]
	s_cbranch_execz .LBB0_5
; %bb.4:
	flat_load_dword v4, v[2:3] offset:100
	buffer_load_dword v5, off, s[0:3], s32 offset:148 ; 4-byte Folded Reload
	buffer_load_dword v6, off, s[0:3], s32 offset:152 ; 4-byte Folded Reload
	;; [unrolled: 1-line block ×4, first 2 shown]
	s_waitcnt vmcnt(0)
	v_add_co_u32_e32 v7, vcc, v20, v5
	v_addc_co_u32_e32 v8, vcc, v0, v6, vcc
	buffer_store_dword v7, off, s[0:3], s32 offset:164 ; 4-byte Folded Spill
	s_nop 0
	buffer_store_dword v8, off, s[0:3], s32 offset:168 ; 4-byte Folded Spill
	v_mov_b32_e32 v7, v18
	s_waitcnt lgkmcnt(0)
	v_lshrrev_b32_e32 v21, 6, v4
	v_mov_b32_e32 v8, v19
	buffer_store_dword v5, off, s[0:3], s32 offset:148 ; 4-byte Folded Spill
	s_nop 0
	buffer_store_dword v6, off, s[0:3], s32 offset:152 ; 4-byte Folded Spill
	buffer_store_dword v7, off, s[0:3], s32 offset:156 ; 4-byte Folded Spill
	;; [unrolled: 1-line block ×3, first 2 shown]
.LBB0_5:
	s_or_b64 exec, exec, s[6:7]
.LBB0_6:
	s_andn2_saveexec_b64 s[4:5], s[4:5]
	s_cbranch_execz .LBB0_8
; %bb.7:
	flat_load_dwordx2 v[4:5], v[2:3] offset:96
	s_waitcnt vmcnt(0) lgkmcnt(0)
	v_lshlrev_b64 v[21:22], 4, v[4:5]
	v_mov_b32_e32 v4, 0
	v_mov_b32_e32 v5, 0
	buffer_store_dword v4, off, s[0:3], s32 offset:164 ; 4-byte Folded Spill
	s_nop 0
	buffer_store_dword v5, off, s[0:3], s32 offset:168 ; 4-byte Folded Spill
	buffer_load_dword v4, off, s[0:3], s32 offset:148 ; 4-byte Folded Reload
	s_nop 0
	buffer_load_dword v5, off, s[0:3], s32 offset:152 ; 4-byte Folded Reload
	buffer_load_dword v6, off, s[0:3], s32 offset:156 ; 4-byte Folded Reload
	;; [unrolled: 1-line block ×3, first 2 shown]
	s_waitcnt vmcnt(0)
	v_mov_b32_e32 v7, v5
	v_mov_b32_e32 v6, v4
	buffer_store_dword v4, off, s[0:3], s32 offset:148 ; 4-byte Folded Spill
	s_nop 0
	buffer_store_dword v5, off, s[0:3], s32 offset:152 ; 4-byte Folded Spill
	buffer_store_dword v6, off, s[0:3], s32 offset:156 ; 4-byte Folded Spill
	;; [unrolled: 1-line block ×3, first 2 shown]
.LBB0_8:
	s_or_b64 exec, exec, s[4:5]
	flat_load_dwordx4 v[4:7], v[2:3] offset:16
	v_ashrrev_i32_e32 v10, 31, v9
	v_mov_b32_e32 v24, 0
	s_mov_b32 s6, 0
	v_mov_b32_e32 v25, 0
	s_waitcnt vmcnt(0) lgkmcnt(0)
	buffer_store_dword v4, off, s[0:3], s32 offset:196 ; 4-byte Folded Spill
	s_nop 0
	buffer_store_dword v5, off, s[0:3], s32 offset:200 ; 4-byte Folded Spill
	buffer_store_dword v6, off, s[0:3], s32 offset:204 ; 4-byte Folded Spill
	;; [unrolled: 1-line block ×3, first 2 shown]
	flat_load_ushort v5, v[2:3] offset:8
	s_nop 0
	flat_load_dword v4, v[2:3] offset:4
	s_waitcnt vmcnt(0) lgkmcnt(0)
	v_lshrrev_b64 v[2:3], 31, v[4:5]
	v_mov_b32_e32 v3, 0
	v_and_b32_e32 v5, 3, v2
	v_lshrrev_b32_e32 v2, 26, v10
	v_add_u32_e32 v2, v9, v2
	buffer_store_dword v9, off, s[0:3], s32 offset:60 ; 4-byte Folded Spill
	s_nop 0
	buffer_store_dword v10, off, s[0:3], s32 offset:64 ; 4-byte Folded Spill
	s_load_dword s4, s[8:9], 0x0
	v_and_b32_e32 v2, 0xffffffc0, v2
	s_waitcnt lgkmcnt(0)
	s_cmp_lt_u32 s12, s4
	s_cselect_b32 s4, 12, 18
	s_add_u32 s4, s8, s4
	s_addc_u32 s5, s9, 0
	global_load_ushort v12, v3, s[4:5]
	s_trap 2
	v_sub_u32_e32 v4, v9, v2
	ds_read_b32 v2, v0
	v_cmp_eq_u32_e64 s[4:5], 0, v4
	s_waitcnt lgkmcnt(0)
	v_cmp_gt_i32_e32 vcc, 0, v2
	v_readfirstlane_b32 s8, v2
	s_cbranch_vccnz .LBB0_10
; %bb.9:
	s_trap 2
	ds_read_b64 v[6:7], v0
	v_lshlrev_b64 v[2:3], 3, v[2:3]
	s_movk_i32 s6, 0xa8
	s_waitcnt lgkmcnt(0)
	v_add_co_u32_e32 v2, vcc, v6, v2
	v_addc_co_u32_e32 v3, vcc, v7, v3, vcc
	flat_load_dwordx2 v[2:3], v[2:3]
	v_and_b32_e32 v6, 0xffff, v5
	s_waitcnt vmcnt(0) lgkmcnt(0)
	v_mad_u64_u32 v[2:3], s[6:7], v6, s6, v[2:3]
	s_mov_b32 s6, 1
	flat_load_dwordx2 v[6:7], v[2:3] offset:504
	v_add_co_u32_e32 v26, vcc, 0x1f8, v2
	v_addc_co_u32_e32 v27, vcc, 0, v3, vcc
	s_waitcnt vmcnt(0) lgkmcnt(0)
	buffer_store_dword v6, off, s[0:3], s32 offset:104 ; 4-byte Folded Spill
	s_nop 0
	buffer_store_dword v7, off, s[0:3], s32 offset:108 ; 4-byte Folded Spill
	flat_load_dwordx2 v[36:37], v[2:3] offset:608
	v_cndmask_b32_e64 v3, 0, v27, s[4:5]
	v_cndmask_b32_e64 v2, 0, v26, s[4:5]
	s_branch .LBB0_11
.LBB0_10:
	v_mov_b32_e32 v26, 0
	v_mov_b32_e32 v2, 0
	;; [unrolled: 1-line block ×4, first 2 shown]
                                        ; implicit-def: $vgpr36_vgpr37
                                        ; implicit-def: $vgpr6_vgpr7
                                        ; kill: killed $vgpr6_vgpr7
.LBB0_11:
	s_trap 2
	ds_read_b32 v14, v0
	s_waitcnt lgkmcnt(0)
	v_cmp_gt_i32_e32 vcc, 0, v14
	s_cbranch_vccnz .LBB0_13
; %bb.12:
	s_trap 2
	ds_read_b64 v[6:7], v0
	v_mov_b32_e32 v15, 0
	v_lshlrev_b64 v[8:9], 3, v[14:15]
	v_and_b32_e32 v5, 0xffff, v5
	s_movk_i32 s4, 0xa8
	s_waitcnt lgkmcnt(0)
	v_add_co_u32_e32 v6, vcc, v6, v8
	v_addc_co_u32_e32 v7, vcc, v7, v9, vcc
	flat_load_dwordx2 v[6:7], v[6:7]
	v_cmp_eq_u32_e32 vcc, 0, v4
	s_waitcnt vmcnt(0) lgkmcnt(0)
	v_mad_u64_u32 v[24:25], s[4:5], v5, s4, v[6:7]
	flat_load_dwordx2 v[5:6], v[24:25]
	v_cndmask_b32_e32 v17, 0, v25, vcc
	v_cndmask_b32_e32 v16, 0, v24, vcc
	s_waitcnt vmcnt(0) lgkmcnt(0)
	buffer_store_dword v5, off, s[0:3], s32 offset:76 ; 4-byte Folded Spill
	s_nop 0
	buffer_store_dword v6, off, s[0:3], s32 offset:80 ; 4-byte Folded Spill
	flat_load_dwordx2 v[22:23], v[24:25] offset:104
	s_branch .LBB0_14
.LBB0_13:
	v_mov_b32_e32 v16, 0
	v_mov_b32_e32 v17, 0
                                        ; implicit-def: $vgpr22_vgpr23
                                        ; implicit-def: $vgpr5_vgpr6
                                        ; kill: killed $vgpr5_vgpr6
.LBB0_14:
	buffer_load_dword v6, off, s[0:3], s32 offset:60 ; 4-byte Folded Reload
	buffer_load_dword v7, off, s[0:3], s32 offset:64 ; 4-byte Folded Reload
	v_subrev_u32_e32 v5, 64, v1
	v_cmp_gt_i32_e64 s[4:5], s6, v4
	v_mov_b32_e32 v14, 0
	v_mov_b32_e32 v15, 0
                                        ; implicit-def: $vgpr48_vgpr49
	s_waitcnt vmcnt(0)
	v_cmp_ge_i32_e32 vcc, v6, v5
	v_mov_b32_e32 v4, 0
	v_mov_b32_e32 v5, 0
	s_and_b64 s[22:23], vcc, s[4:5]
	buffer_store_dword v4, off, s[0:3], s32 offset:96 ; 4-byte Folded Spill
	s_nop 0
	buffer_store_dword v5, off, s[0:3], s32 offset:100 ; 4-byte Folded Spill
	s_and_saveexec_b64 s[4:5], s[22:23]
	s_cbranch_execz .LBB0_16
; %bb.15:
	flat_load_dwordx2 v[4:5], v[2:3] offset:56
	s_waitcnt vmcnt(0) lgkmcnt(0)
	buffer_store_dword v4, off, s[0:3], s32 offset:96 ; 4-byte Folded Spill
	s_nop 0
	buffer_store_dword v5, off, s[0:3], s32 offset:100 ; 4-byte Folded Spill
	flat_load_dwordx2 v[48:49], v[2:3] offset:104
.LBB0_16:
	s_or_b64 exec, exec, s[4:5]
	buffer_load_dword v2, off, s[0:3], s32 offset:60 ; 4-byte Folded Reload
	buffer_load_dword v3, off, s[0:3], s32 offset:64 ; 4-byte Folded Reload
	v_mov_b32_e32 v52, 0
	v_mov_b32_e32 v53, 0
                                        ; implicit-def: $vgpr54_vgpr55
	s_waitcnt vmcnt(0)
	v_cmp_gt_i32_e64 s[4:5], s6, v2
	s_and_saveexec_b64 s[6:7], s[4:5]
	s_cbranch_execz .LBB0_18
; %bb.17:
	flat_load_dwordx2 v[52:53], v[16:17] offset:56
	s_waitcnt vmcnt(0) lgkmcnt(0)
	flat_load_dwordx2 v[54:55], v[52:53] glc
	s_waitcnt vmcnt(0)
	flat_load_dwordx4 v[14:17], v[16:17] offset:96
.LBB0_18:
	s_or_b64 exec, exec, s[6:7]
	buffer_load_dword v8, off, s[0:3], s32 offset:148 ; 4-byte Folded Reload
	buffer_load_dword v9, off, s[0:3], s32 offset:152 ; 4-byte Folded Reload
	buffer_load_dword v10, off, s[0:3], s32 offset:156 ; 4-byte Folded Reload
	buffer_load_dword v11, off, s[0:3], s32 offset:160 ; 4-byte Folded Reload
	v_mov_b32_e32 v42, 0
	v_mov_b32_e32 v43, 0
	s_waitcnt vmcnt(0)
	v_cmp_ne_u64_e32 vcc, 0, v[10:11]
	s_and_saveexec_b64 s[24:25], vcc
	s_cbranch_execnz .LBB0_22
; %bb.19:
	s_or_b64 exec, exec, s[24:25]
	s_and_saveexec_b64 s[6:7], s[22:23]
	s_cbranch_execnz .LBB0_789
.LBB0_20:
	s_or_b64 exec, exec, s[6:7]
	s_and_saveexec_b64 s[6:7], s[4:5]
	s_cbranch_execnz .LBB0_790
.LBB0_21:
	s_or_b64 exec, exec, s[6:7]
	v_cmp_ne_u32_e32 vcc, 64, v1
	s_and_saveexec_b64 s[4:5], vcc
	s_cbranch_execnz .LBB0_791
	s_branch .LBB0_808
.LBB0_22:
	v_add_co_u32_e32 v2, vcc, v18, v8
	v_addc_co_u32_e32 v4, vcc, v19, v9, vcc
	v_add_co_u32_e32 v2, vcc, v2, v20
	v_addc_co_u32_e32 v0, vcc, v4, v0, vcc
	buffer_store_dword v26, off, s[0:3], s32 offset:256 ; 4-byte Folded Spill
	s_nop 0
	buffer_store_dword v27, off, s[0:3], s32 offset:260 ; 4-byte Folded Spill
	buffer_store_dword v24, off, s[0:3], s32 offset:248 ; 4-byte Folded Spill
	s_nop 0
	buffer_store_dword v25, off, s[0:3], s32 offset:252 ; 4-byte Folded Spill
	buffer_store_dword v2, off, s[0:3], s32 offset:88 ; 4-byte Folded Spill
	;; [unrolled: 1-line block ×3, first 2 shown]
	buffer_load_dword v4, off, s[0:3], s32 offset:68 ; 4-byte Folded Reload
	buffer_load_dword v5, off, s[0:3], s32 offset:72 ; 4-byte Folded Reload
	s_ashr_i32 s6, s8, 31
	s_lshr_b32 s6, s6, 29
	s_ashr_i32 s21, s20, 31
	s_add_i32 s8, s8, s6
	s_lshl_b64 s[6:7], s[20:21], 2
	v_mov_b32_e32 v0, s7
	v_cmp_ne_u32_sdwa s[40:41], v1, v12 src0_sel:DWORD src1_sel:WORD_0
	v_mov_b32_e32 v3, 0
	s_ashr_i32 s10, s8, 3
	s_ashr_i32 s36, s8, 7
	s_and_b32 s21, s10, -16
	s_waitcnt lgkmcnt(0)
	v_cmp_ne_u64_e64 s[8:9], 0, v[14:15]
	s_cmp_gt_i32 s20, 2
	s_mov_b32 s46, -1
	v_mov_b32_e32 v28, 0
	v_mov_b32_e32 v42, 0
	v_and_b32_e32 v24, 0x1fffff0, v21
	s_mov_b32 s27, 0
	v_mov_b32_e32 v25, v3
	s_mov_b64 s[28:29], 0
	v_cmp_ne_u32_e64 s[10:11], 64, v1
	v_lshlrev_b32_e32 v13, 3, v1
	s_cselect_b64 s[42:43], -1, 0
	s_mov_b64 s[44:45], 0x7ffffff8
	s_movk_i32 s37, 0xff
	s_movk_i32 s38, 0xff80
	;; [unrolled: 1-line block ×3, first 2 shown]
	s_mov_b32 s47, 0xffffff
	s_mov_b64 s[56:57], 0x7f800000
	s_movk_i32 s48, 0x80
	s_mov_b64 s[58:59], 0x47600001
	s_movk_i32 s49, 0x72
	;; [unrolled: 2-line block ×3, first 2 shown]
	s_mov_b32 s51, 0x7c0000
	s_brev_b32 s52, 62
	v_mov_b32_e32 v27, -1
	v_mov_b32_e32 v40, 0x70
	v_mov_b32_e32 v41, 0xffffff82
	;; [unrolled: 1-line block ×6, first 2 shown]
	s_waitcnt vmcnt(1)
	v_add_co_u32_e32 v2, vcc, s6, v4
	s_waitcnt vmcnt(0)
	v_addc_co_u32_e32 v0, vcc, v5, v0, vcc
	v_add_co_u32_e32 v4, vcc, -4, v2
	v_addc_co_u32_e32 v5, vcc, -1, v0, vcc
	v_and_b32_e32 v0, 63, v31
	v_cmp_eq_u32_e64 s[12:13], 0, v0
	v_lshrrev_b32_e32 v0, 6, v1
	buffer_store_dword v4, off, s[0:3], s32 offset:180 ; 4-byte Folded Spill
	s_nop 0
	buffer_store_dword v5, off, s[0:3], s32 offset:184 ; 4-byte Folded Spill
	buffer_store_dword v12, off, s[0:3], s32 offset:244 ; 4-byte Folded Spill
	;; [unrolled: 1-line block ×4, first 2 shown]
	buffer_load_dword v4, off, s[0:3], s32 offset:60 ; 4-byte Folded Reload
	s_nop 0
	buffer_load_dword v5, off, s[0:3], s32 offset:64 ; 4-byte Folded Reload
	buffer_load_dword v6, off, s[0:3], s32 offset:196 ; 4-byte Folded Reload
	;; [unrolled: 1-line block ×5, first 2 shown]
	v_cmp_ne_u64_e64 s[6:7], 0, v[52:53]
	s_waitcnt vmcnt(5)
	v_lshlrev_b32_e32 v12, 3, v4
	v_ashrrev_i32_e32 v20, 31, v12
	s_waitcnt vmcnt(1)
	v_add_co_u32_e32 v0, vcc, v8, v12
	buffer_store_dword v0, off, s[0:3], s32 offset:216 ; 4-byte Folded Spill
	s_waitcnt vmcnt(1)
	v_addc_co_u32_e32 v0, vcc, v9, v20, vcc
	buffer_store_dword v0, off, s[0:3], s32 offset:220 ; 4-byte Folded Spill
	v_add_co_u32_e32 v0, vcc, v6, v12
	buffer_load_dword v18, off, s[0:3], s32 offset:96 ; 4-byte Folded Reload
	buffer_load_dword v19, off, s[0:3], s32 offset:100 ; 4-byte Folded Reload
	v_lshlrev_b64 v[4:5], 4, v[4:5]
	buffer_store_dword v0, off, s[0:3], s32 offset:224 ; 4-byte Folded Spill
	v_addc_co_u32_e32 v0, vcc, v7, v20, vcc
	buffer_store_dword v0, off, s[0:3], s32 offset:228 ; 4-byte Folded Spill
	buffer_load_dword v6, off, s[0:3], s32 offset:164 ; 4-byte Folded Reload
	buffer_load_dword v7, off, s[0:3], s32 offset:168 ; 4-byte Folded Reload
	s_waitcnt vmcnt(4)
	v_cmp_ne_u64_e64 s[14:15], 0, v[18:19]
	buffer_store_dword v12, off, s[0:3], s32 offset:144 ; 4-byte Folded Spill
	buffer_store_dword v20, off, s[0:3], s32 offset:212 ; 4-byte Folded Spill
	s_waitcnt vmcnt(3)
	v_add_co_u32_e32 v0, vcc, v6, v8
	s_waitcnt vmcnt(2)
	v_addc_co_u32_e32 v2, vcc, v7, v9, vcc
	v_add_co_u32_e32 v6, vcc, v0, v12
	v_addc_co_u32_e32 v7, vcc, v2, v20, vcc
	v_lshlrev_b32_e32 v0, 6, v1
	buffer_store_dword v6, off, s[0:3], s32 offset:128 ; 4-byte Folded Spill
	s_nop 0
	buffer_store_dword v7, off, s[0:3], s32 offset:132 ; 4-byte Folded Spill
	buffer_store_dword v0, off, s[0:3], s32 offset:84 ; 4-byte Folded Spill
	buffer_load_dword v6, off, s[0:3], s32 offset:76 ; 4-byte Folded Reload
	s_nop 0
	buffer_load_dword v7, off, s[0:3], s32 offset:80 ; 4-byte Folded Reload
	v_mov_b32_e32 v2, v3
	v_lshlrev_b64 v[44:45], 4, v[1:2]
	v_mov_b32_e32 v8, 0x7f800000
	v_mov_b32_e32 v9, 0x7f800001
	v_bfrev_b32_e32 v12, 0.5
	s_waitcnt vmcnt(1)
	v_add_co_u32_e32 v0, vcc, v6, v4
	buffer_store_dword v0, off, s[0:3], s32 offset:232 ; 4-byte Folded Spill
	s_waitcnt vmcnt(1)
	v_addc_co_u32_e32 v0, vcc, v7, v5, vcc
	v_mov_b32_e32 v5, 0xff800000
	buffer_store_dword v0, off, s[0:3], s32 offset:236 ; 4-byte Folded Spill
	buffer_store_dword v24, off, s[0:3], s32 offset:172 ; 4-byte Folded Spill
	s_nop 0
	buffer_store_dword v25, off, s[0:3], s32 offset:176 ; 4-byte Folded Spill
	s_branch .LBB0_24
.LBB0_23:                               ;   in Loop: Header=BB0_24 Depth=1
	s_or_b64 exec, exec, s[16:17]
	buffer_load_dword v6, off, s[0:3], s32 offset:128 ; 4-byte Folded Reload
	buffer_load_dword v7, off, s[0:3], s32 offset:132 ; 4-byte Folded Reload
	v_add_co_u32_e32 v36, vcc, 1, v36
	v_addc_co_u32_e32 v37, vcc, 0, v37, vcc
	v_add_co_u32_e32 v28, vcc, v28, v24
	v_addc_co_u32_e32 v29, vcc, 0, v29, vcc
	s_waitcnt vmcnt(0)
	v_add_co_u32_e32 v6, vcc, v6, v24
	v_addc_co_u32_e32 v7, vcc, 0, v7, vcc
	v_cmp_ge_u64_e32 vcc, v[28:29], v[10:11]
	buffer_store_dword v6, off, s[0:3], s32 offset:128 ; 4-byte Folded Spill
	s_nop 0
	buffer_store_dword v7, off, s[0:3], s32 offset:132 ; 4-byte Folded Spill
	s_or_b64 s[28:29], vcc, s[28:29]
	s_andn2_b64 exec, exec, s[28:29]
	s_cbranch_execz .LBB0_788
.LBB0_24:                               ; =>This Loop Header: Depth=1
                                        ;     Child Loop BB0_29 Depth 2
                                        ;     Child Loop BB0_48 Depth 2
	;; [unrolled: 1-line block ×5, first 2 shown]
                                        ;       Child Loop BB0_78 Depth 3
                                        ;       Child Loop BB0_97 Depth 3
                                        ;       Child Loop BB0_118 Depth 3
                                        ;         Child Loop BB0_126 Depth 4
                                        ;       Child Loop BB0_429 Depth 3
                                        ;       Child Loop BB0_114 Depth 3
                                        ;     Child Loop BB0_444 Depth 2
                                        ;       Child Loop BB0_452 Depth 3
                                        ;     Child Loop BB0_775 Depth 2
	buffer_load_dword v6, off, s[0:3], s32 offset:180 ; 4-byte Folded Reload
	buffer_load_dword v7, off, s[0:3], s32 offset:184 ; 4-byte Folded Reload
	s_waitcnt vmcnt(0) lgkmcnt(0)
	flat_load_dword v0, v[6:7]
	v_sub_co_u32_e32 v6, vcc, v10, v28
	v_subb_co_u32_e32 v7, vcc, v11, v29, vcc
	v_cmp_lt_u64_e32 vcc, v[24:25], v[6:7]
	v_cndmask_b32_e32 v4, v6, v24, vcc
	v_lshl_add_u32 v2, v4, 1, 14
	v_and_b32_e32 v2, 0x7fffff0, v2
	buffer_store_dword v2, off, s[0:3], s32 offset:120 ; 4-byte Folded Spill
	s_and_saveexec_b64 s[18:19], s[6:7]
	s_cbranch_execz .LBB0_40
; %bb.25:                               ;   in Loop: Header=BB0_24 Depth=1
	v_add_co_u32_e32 v18, vcc, 1, v16
	v_addc_co_u32_e32 v19, vcc, 0, v17, vcc
	v_add_co_u32_e32 v6, vcc, 8, v54
	v_addc_co_u32_e32 v7, vcc, 0, v55, vcc
	v_cmp_lt_u64_e32 vcc, v[6:7], v[18:19]
	s_and_saveexec_b64 s[62:63], vcc
	s_cbranch_execz .LBB0_37
; %bb.26:                               ;   in Loop: Header=BB0_24 Depth=1
	s_mov_b32 s26, 0
	v_cmp_eq_u32_e32 vcc, 0, v51
	s_mov_b64 s[72:73], 0
                                        ; implicit-def: $sgpr74_sgpr75
                                        ; implicit-def: $sgpr76_sgpr77
                                        ; implicit-def: $sgpr78_sgpr79
	s_branch .LBB0_29
.LBB0_27:                               ;   in Loop: Header=BB0_29 Depth=2
	s_or_b64 exec, exec, s[30:31]
	s_andn2_b64 s[16:17], s[78:79], exec
	s_and_b64 s[78:79], s[92:93], exec
	s_or_b64 s[78:79], s[16:17], s[78:79]
	s_andn2_b64 s[16:17], s[76:77], exec
	s_and_b64 s[76:77], s[90:91], exec
	v_mov_b32_e32 v6, 0
	s_or_b64 s[76:77], s[16:17], s[76:77]
.LBB0_28:                               ;   in Loop: Header=BB0_29 Depth=2
	s_or_b64 exec, exec, s[88:89]
	s_and_b64 s[16:17], exec, s[76:77]
	s_or_b64 s[72:73], s[16:17], s[72:73]
	s_andn2_b64 s[16:17], s[74:75], exec
	s_and_b64 s[74:75], s[78:79], exec
	s_or_b64 s[74:75], s[16:17], s[74:75]
	s_andn2_b64 exec, exec, s[72:73]
	s_cbranch_execz .LBB0_34
.LBB0_29:                               ;   Parent Loop BB0_24 Depth=1
                                        ; =>  This Inner Loop Header: Depth=2
	s_sleep 1
	s_waitcnt vmcnt(0) lgkmcnt(0)
	flat_load_dwordx2 v[54:55], v[52:53] glc
	s_or_b64 s[78:79], s[78:79], exec
	s_or_b64 s[76:77], s[76:77], exec
	v_mov_b32_e32 v6, v51
                                        ; implicit-def: $vgpr2
	s_and_saveexec_b64 s[88:89], vcc
	s_cbranch_execz .LBB0_28
; %bb.30:                               ;   in Loop: Header=BB0_29 Depth=2
	s_add_i32 s26, s26, 1
	s_cmpk_lg_i32 s26, 0x2710
	s_cselect_b64 s[94:95], -1, 0
	s_cmpk_eq_i32 s26, 0x2710
	s_mov_b64 s[90:91], -1
	s_mov_b64 s[92:93], -1
                                        ; implicit-def: $vgpr2
	s_cbranch_scc1 .LBB0_32
; %bb.31:                               ;   in Loop: Header=BB0_29 Depth=2
	s_and_saveexec_b64 s[30:31], s[94:95]
	s_cbranch_execz .LBB0_27
	s_branch .LBB0_33
.LBB0_32:                               ;   in Loop: Header=BB0_29 Depth=2
	s_trap 2
	s_waitcnt vmcnt(0) lgkmcnt(0)
	ds_read_b64 v[6:7], v0
	s_andn2_b64 s[94:95], s[94:95], exec
	s_mov_b32 s26, 0
	s_mov_b64 s[92:93], 0
	s_waitcnt lgkmcnt(0)
	flat_load_dword v2, v[6:7] glc
	s_waitcnt vmcnt(0) lgkmcnt(0)
	buffer_wbinvl1_vol
	v_cmp_eq_u32_e64 s[16:17], 0, v2
	s_and_b64 s[16:17], s[16:17], exec
	s_or_b64 s[94:95], s[94:95], s[16:17]
	s_and_saveexec_b64 s[30:31], s[94:95]
	s_cbranch_execz .LBB0_27
.LBB0_33:                               ;   in Loop: Header=BB0_29 Depth=2
	s_waitcnt vmcnt(0) lgkmcnt(0)
	v_add_co_u32_e64 v6, s[16:17], 8, v54
	v_addc_co_u32_e64 v7, s[16:17], 0, v55, s[16:17]
	v_cmp_ge_u64_e64 s[16:17], v[6:7], v[18:19]
	s_or_b64 s[92:93], s[92:93], exec
	s_orn2_b64 s[90:91], s[16:17], exec
	s_branch .LBB0_27
.LBB0_34:                               ;   in Loop: Header=BB0_24 Depth=1
	s_or_b64 exec, exec, s[72:73]
	s_xor_b64 s[16:17], s[74:75], -1
	s_and_saveexec_b64 s[72:73], s[16:17]
	s_xor_b64 s[16:17], exec, s[72:73]
	s_cbranch_execz .LBB0_36
; %bb.35:                               ;   in Loop: Header=BB0_24 Depth=1
	v_mov_b32_e32 v6, 1
	s_waitcnt vmcnt(0) lgkmcnt(0)
	ds_write_b32 v0, v2
	s_trap 2
.LBB0_36:                               ;   in Loop: Header=BB0_24 Depth=1
	s_or_b64 exec, exec, s[16:17]
	v_mov_b32_e32 v51, v6
.LBB0_37:                               ;   in Loop: Header=BB0_24 Depth=1
	s_or_b64 exec, exec, s[62:63]
	s_and_saveexec_b64 s[16:17], s[8:9]
	s_cbranch_execz .LBB0_39
; %bb.38:                               ;   in Loop: Header=BB0_24 Depth=1
	v_and_b32_e32 v2, 0x7ffffff8, v16
	v_cmp_eq_u64_e32 vcc, s[44:45], v[2:3]
	buffer_load_dword v2, off, s[0:3], s32 offset:120 ; 4-byte Folded Reload
	v_and_b32_e32 v6, 7, v16
	v_mad_u64_u32 v[6:7], s[62:63], v6, 24, v[14:15]
	v_mov_b32_e32 v10, s21
	s_waitcnt vmcnt(0)
	v_cndmask_b32_e32 v10, v2, v10, vcc
	v_ashrrev_i32_e32 v11, 31, v10
	flat_store_dwordx2 v[6:7], v[10:11] offset:8
	s_waitcnt vmcnt(0)
.LBB0_39:                               ;   in Loop: Header=BB0_24 Depth=1
	s_or_b64 exec, exec, s[16:17]
	v_mov_b32_e32 v16, v18
	v_mov_b32_e32 v17, v19
.LBB0_40:                               ;   in Loop: Header=BB0_24 Depth=1
	s_or_b64 exec, exec, s[18:19]
	s_and_saveexec_b64 s[16:17], s[10:11]
	s_cbranch_execz .LBB0_59
; %bb.41:                               ;   in Loop: Header=BB0_24 Depth=1
	s_and_saveexec_b64 s[18:19], s[40:41]
	s_xor_b64 s[18:19], exec, s[18:19]
	s_cbranch_execz .LBB0_56
; %bb.42:                               ;   in Loop: Header=BB0_24 Depth=1
	s_and_saveexec_b64 s[62:63], s[12:13]
	s_cbranch_execz .LBB0_55
; %bb.43:                               ;   in Loop: Header=BB0_24 Depth=1
	s_mov_b64 s[74:75], exec
	v_mbcnt_lo_u32_b32 v2, s74, 0
	v_mbcnt_hi_u32_b32 v2, s75, v2
	v_cmp_eq_u32_e32 vcc, 0, v2
	s_waitcnt vmcnt(0) lgkmcnt(0)
	buffer_wbinvl1_vol
	s_and_saveexec_b64 s[72:73], vcc
	s_cbranch_execz .LBB0_45
; %bb.44:                               ;   in Loop: Header=BB0_24 Depth=1
	s_bcnt1_i32_b64 s26, s[74:75]
	v_mov_b32_e32 v2, s26
	ds_add_u64 v0, v[2:3]
	s_trap 2
.LBB0_45:                               ;   in Loop: Header=BB0_24 Depth=1
	s_or_b64 exec, exec, s[72:73]
	s_trap 2
	ds_read_b64 v[6:7], v0
	s_waitcnt lgkmcnt(0)
	buffer_load_dword v2, off, s[0:3], s32 offset:124 ; 4-byte Folded Reload
	s_waitcnt vmcnt(0)
	v_add_co_u32_e32 v42, vcc, v42, v2
	v_addc_co_u32_e32 v43, vcc, 0, v43, vcc
	v_cmp_lt_u64_e32 vcc, v[6:7], v[42:43]
	s_and_saveexec_b64 s[72:73], vcc
	s_cbranch_execz .LBB0_54
; %bb.46:                               ;   in Loop: Header=BB0_24 Depth=1
	s_mov_b32 s26, 0
	s_mov_b64 s[74:75], 0
                                        ; implicit-def: $sgpr76_sgpr77
                                        ; implicit-def: $sgpr78_sgpr79
	s_branch .LBB0_48
.LBB0_47:                               ;   in Loop: Header=BB0_48 Depth=2
	s_or_b64 exec, exec, s[90:91]
	s_and_b64 s[88:89], exec, s[92:93]
	s_or_b64 s[74:75], s[88:89], s[74:75]
	s_andn2_b64 s[76:77], s[76:77], exec
	s_and_b64 s[88:89], s[78:79], exec
	s_or_b64 s[76:77], s[76:77], s[88:89]
	s_andn2_b64 exec, exec, s[74:75]
	s_cbranch_execz .LBB0_52
.LBB0_48:                               ;   Parent Loop BB0_24 Depth=1
                                        ; =>  This Inner Loop Header: Depth=2
	s_add_i32 s26, s26, 1
	s_cmpk_lg_i32 s26, 0x2710
	s_cselect_b64 s[88:89], -1, 0
	s_and_b64 vcc, exec, s[88:89]
	s_cbranch_vccz .LBB0_50
; %bb.49:                               ;   in Loop: Header=BB0_48 Depth=2
	s_mov_b64 s[92:93], -1
	s_or_b64 s[78:79], s[78:79], exec
	s_and_saveexec_b64 s[90:91], s[88:89]
	s_cbranch_execz .LBB0_47
	s_branch .LBB0_51
.LBB0_50:                               ;   in Loop: Header=BB0_48 Depth=2
	s_trap 2
	ds_read_b64 v[6:7], v0
	s_andn2_b64 s[88:89], s[88:89], exec
	s_mov_b32 s26, 0
	s_waitcnt lgkmcnt(0)
	flat_load_dword v2, v[6:7] glc
	s_waitcnt vmcnt(0) lgkmcnt(0)
	buffer_wbinvl1_vol
	v_cmp_eq_u32_e32 vcc, 0, v2
	s_and_b64 s[90:91], vcc, exec
	s_or_b64 s[88:89], s[88:89], s[90:91]
	s_mov_b64 s[92:93], -1
	s_or_b64 s[78:79], s[78:79], exec
	s_and_saveexec_b64 s[90:91], s[88:89]
	s_cbranch_execz .LBB0_47
.LBB0_51:                               ;   in Loop: Header=BB0_48 Depth=2
	s_sleep 1
	s_trap 2
	ds_read_b64 v[6:7], v0
	s_waitcnt lgkmcnt(0)
	s_andn2_b64 s[78:79], s[78:79], exec
	v_cmp_ge_u64_e32 vcc, v[6:7], v[42:43]
	s_orn2_b64 s[92:93], vcc, exec
	s_branch .LBB0_47
.LBB0_52:                               ;   in Loop: Header=BB0_24 Depth=1
	s_or_b64 exec, exec, s[74:75]
	s_and_saveexec_b64 s[74:75], s[76:77]
	s_xor_b64 s[74:75], exec, s[74:75]
	s_cbranch_execz .LBB0_54
; %bb.53:                               ;   in Loop: Header=BB0_24 Depth=1
	v_mov_b32_e32 v2, 1
	ds_write_b32 v0, v2
	s_trap 2
.LBB0_54:                               ;   in Loop: Header=BB0_24 Depth=1
	s_or_b64 exec, exec, s[72:73]
	;;#ASMSTART
	s_wakeup
	;;#ASMEND
.LBB0_55:                               ;   in Loop: Header=BB0_24 Depth=1
	s_or_b64 exec, exec, s[62:63]
.LBB0_56:                               ;   in Loop: Header=BB0_24 Depth=1
	s_andn2_saveexec_b64 s[18:19], s[18:19]
	s_cbranch_execz .LBB0_58
; %bb.57:                               ;   in Loop: Header=BB0_24 Depth=1
	s_waitcnt vmcnt(0) lgkmcnt(0)
	buffer_wbinvl1_vol
	s_barrier
.LBB0_58:                               ;   in Loop: Header=BB0_24 Depth=1
	s_or_b64 exec, exec, s[18:19]
.LBB0_59:                               ;   in Loop: Header=BB0_24 Depth=1
	s_or_b64 exec, exec, s[16:17]
	buffer_load_dword v2, off, s[0:3], s32 offset:144 ; 4-byte Folded Reload
	buffer_load_dword v32, off, s[0:3], s32 offset:60 ; 4-byte Folded Reload
	;; [unrolled: 1-line block ×3, first 2 shown]
	v_add_u32_e32 v19, 1, v22
	s_waitcnt vmcnt(0)
	v_sub_u32_e32 v7, v4, v2
	v_cmp_lt_i32_e64 s[16:17], 0, v7
	v_and_b32_e32 v4, 7, v22
	s_and_saveexec_b64 s[18:19], s[16:17]
	s_cbranch_execz .LBB0_67
; %bb.60:                               ;   in Loop: Header=BB0_24 Depth=1
	buffer_load_dword v11, off, s[0:3], s32 offset:88 ; 4-byte Folded Reload
	buffer_load_dword v20, off, s[0:3], s32 offset:128 ; 4-byte Folded Reload
	;; [unrolled: 1-line block ×4, first 2 shown]
	s_waitcnt lgkmcnt(0)
	v_ashrrev_i32_e32 v2, 31, v0
	v_mul_lo_u32 v10, v4, s36
	s_waitcnt vmcnt(3)
	v_mul_lo_u32 v2, v11, v2
	s_waitcnt vmcnt(1)
	v_mad_u64_u32 v[30:31], s[62:63], v11, v0, v[20:21]
	s_waitcnt vmcnt(0)
	v_mul_lo_u32 v6, v6, v0
	v_mul_lo_u32 v0, v11, v0
	v_ashrrev_i32_e32 v11, 31, v10
	v_lshlrev_b64 v[10:11], 4, v[10:11]
	v_add3_u32 v31, v6, v31, v2
	buffer_load_dword v2, off, s[0:3], s32 offset:232 ; 4-byte Folded Reload
	v_add_lshl_u32 v0, v20, v0, 3
	s_mov_b64 s[62:63], 0
	v_mov_b32_e32 v6, v7
	s_waitcnt vmcnt(0)
	v_add_co_u32_e32 v56, vcc, v2, v10
	buffer_load_dword v2, off, s[0:3], s32 offset:236 ; 4-byte Folded Reload
	buffer_load_dword v32, off, s[0:3], s32 offset:60 ; 4-byte Folded Reload
	;; [unrolled: 1-line block ×3, first 2 shown]
	s_waitcnt vmcnt(2)
	v_addc_co_u32_e32 v57, vcc, v2, v11, vcc
	s_branch .LBB0_62
.LBB0_61:                               ;   in Loop: Header=BB0_62 Depth=2
	s_or_b64 exec, exec, s[72:73]
	buffer_load_dword v2, off, s[0:3], s32 offset:84 ; 4-byte Folded Reload
	v_add_co_u32_e32 v30, vcc, v30, v13
	v_sub_u32_e32 v6, v6, v13
	v_addc_co_u32_e32 v31, vcc, 0, v31, vcc
	s_waitcnt vmcnt(1)
	v_alignbit_b32 v18, v24, v10, v0
	v_alignbit_b32 v20, v11, v24, v0
	v_mov_b32_e32 v21, v19
	v_cmp_gt_i32_e32 vcc, 1, v6
	global_store_dwordx4 v[56:57], v[18:21], off
	s_or_b64 s[62:63], vcc, s[62:63]
	v_add_co_u32_e32 v56, vcc, v56, v44
	v_add_u32_e32 v32, v32, v1
	v_addc_co_u32_e32 v57, vcc, v57, v45, vcc
	s_waitcnt vmcnt(1)
	v_add_u32_e32 v0, v0, v2
	s_andn2_b64 exec, exec, s[62:63]
	s_cbranch_execz .LBB0_66
.LBB0_62:                               ;   Parent Loop BB0_24 Depth=1
                                        ; =>  This Inner Loop Header: Depth=2
	v_and_b32_e32 v20, -4, v30
	v_mov_b32_e32 v21, v31
	global_load_dword v10, v[20:21], off glc slc
	v_min_u32_e32 v2, 8, v6
	v_and_b32_e32 v11, 3, v30
	v_add_u32_e32 v2, v11, v2
	v_cmp_lt_u32_e32 vcc, 4, v2
	v_mov_b32_e32 v11, 0
	v_mov_b32_e32 v24, 0
	s_and_saveexec_b64 s[72:73], vcc
	s_cbranch_execz .LBB0_64
; %bb.63:                               ;   in Loop: Header=BB0_62 Depth=2
	global_load_dword v24, v[20:21], off offset:4 glc slc
.LBB0_64:                               ;   in Loop: Header=BB0_62 Depth=2
	s_or_b64 exec, exec, s[72:73]
	v_cmp_lt_u64_e32 vcc, 8, v[2:3]
	s_and_saveexec_b64 s[72:73], vcc
	s_cbranch_execz .LBB0_61
; %bb.65:                               ;   in Loop: Header=BB0_62 Depth=2
	global_load_dword v11, v[20:21], off offset:8 glc slc
	s_branch .LBB0_61
.LBB0_66:                               ;   in Loop: Header=BB0_24 Depth=1
	s_or_b64 exec, exec, s[62:63]
.LBB0_67:                               ;   in Loop: Header=BB0_24 Depth=1
	s_or_b64 exec, exec, s[18:19]
	v_and_b32_e32 v2, 0x7ffffff8, v22
	v_cmp_eq_u64_e32 vcc, s[44:45], v[2:3]
	v_cmp_gt_i32_e64 s[18:19], s36, v32
	s_and_b64 s[18:19], vcc, s[18:19]
	s_and_saveexec_b64 s[62:63], s[18:19]
	s_cbranch_execz .LBB0_70
; %bb.68:                               ;   in Loop: Header=BB0_24 Depth=1
	v_mul_lo_u32 v10, v4, s36
	v_ashrrev_i32_e32 v33, 31, v32
	v_lshlrev_b64 v[20:21], 4, v[32:33]
	v_mov_b32_e32 v18, v3
	v_ashrrev_i32_e32 v11, 31, v10
	v_lshlrev_b64 v[10:11], 4, v[10:11]
	s_mov_b64 s[72:73], 0
	s_waitcnt lgkmcnt(0)
	v_add_co_u32_e32 v0, vcc, v20, v10
	v_addc_co_u32_e32 v2, vcc, v21, v11, vcc
	buffer_load_dword v10, off, s[0:3], s32 offset:76 ; 4-byte Folded Reload
	buffer_load_dword v11, off, s[0:3], s32 offset:80 ; 4-byte Folded Reload
	s_waitcnt vmcnt(1)
	v_add_co_u32_e32 v30, vcc, v10, v0
	s_waitcnt vmcnt(0)
	v_addc_co_u32_e32 v31, vcc, v11, v2, vcc
.LBB0_69:                               ;   Parent Loop BB0_24 Depth=1
                                        ; =>  This Inner Loop Header: Depth=2
	v_mov_b32_e32 v20, v18
	v_mov_b32_e32 v21, v19
	v_add_u32_e32 v32, v32, v1
	global_store_dwordx4 v[30:31], v[18:21], off
	v_add_co_u32_e32 v30, vcc, v30, v44
	v_cmp_le_i32_e64 s[18:19], s36, v32
	s_or_b64 s[72:73], s[18:19], s[72:73]
	v_addc_co_u32_e32 v31, vcc, v31, v45, vcc
	s_andn2_b64 exec, exec, s[72:73]
	s_cbranch_execnz .LBB0_69
.LBB0_70:                               ;   in Loop: Header=BB0_24 Depth=1
	s_or_b64 exec, exec, s[62:63]
	buffer_load_dword v10, off, s[0:3], s32 offset:164 ; 4-byte Folded Reload
	buffer_load_dword v11, off, s[0:3], s32 offset:168 ; 4-byte Folded Reload
	v_add_co_u32_e64 v56, s[18:19], 1, v22
	v_addc_co_u32_e64 v57, s[18:19], 0, v23, s[18:19]
	s_waitcnt vmcnt(0)
	v_add_co_u32_e32 v2, vcc, v28, v10
	buffer_store_dword v28, off, s[0:3], s32 offset:136 ; 4-byte Folded Spill
	s_nop 0
	buffer_store_dword v29, off, s[0:3], s32 offset:140 ; 4-byte Folded Spill
	v_addc_co_u32_e32 v4, vcc, v29, v11, vcc
	s_andn2_b64 vcc, exec, s[42:43]
	s_cbranch_vccnz .LBB0_440
; %bb.71:                               ;   in Loop: Header=BB0_24 Depth=1
	s_waitcnt lgkmcnt(0)
	buffer_load_dword v0, off, s[0:3], s32 offset:216 ; 4-byte Folded Reload
	s_mov_b32 s53, 2
	buffer_store_dword v2, off, s[0:3], s32 offset:188 ; 4-byte Folded Spill
	buffer_store_dword v4, off, s[0:3], s32 offset:192 ; 4-byte Folded Spill
	s_waitcnt vmcnt(2)
	v_add_co_u32_e32 v10, vcc, v0, v2
	buffer_load_dword v0, off, s[0:3], s32 offset:220 ; 4-byte Folded Reload
	s_waitcnt vmcnt(0)
	v_addc_co_u32_e32 v11, vcc, v0, v4, vcc
	buffer_store_dword v10, off, s[0:3], s32 offset:112 ; 4-byte Folded Spill
	s_nop 0
	buffer_store_dword v11, off, s[0:3], s32 offset:116 ; 4-byte Folded Spill
	v_add_u16_e32 v10, 1, v22
	s_branch .LBB0_73
.LBB0_72:                               ;   in Loop: Header=BB0_73 Depth=2
	s_or_b64 exec, exec, s[62:63]
	v_add_co_u32_e32 v36, vcc, 1, v36
	v_addc_co_u32_e32 v37, vcc, 0, v37, vcc
	s_add_i32 s53, s53, 1
	v_add_co_u32_e32 v56, vcc, 1, v56
	v_addc_co_u32_e32 v57, vcc, 0, v57, vcc
	s_cmp_eq_u32 s53, s20
	v_add_u16_e32 v10, 1, v10
	s_cbranch_scc1 .LBB0_441
.LBB0_73:                               ;   Parent Loop BB0_24 Depth=1
                                        ; =>  This Loop Header: Depth=2
                                        ;       Child Loop BB0_78 Depth 3
                                        ;       Child Loop BB0_97 Depth 3
	;; [unrolled: 1-line block ×3, first 2 shown]
                                        ;         Child Loop BB0_126 Depth 4
                                        ;       Child Loop BB0_429 Depth 3
                                        ;       Child Loop BB0_114 Depth 3
	buffer_load_dword v18, off, s[0:3], s32 offset:68 ; 4-byte Folded Reload
	buffer_load_dword v19, off, s[0:3], s32 offset:72 ; 4-byte Folded Reload
	s_sub_i32 s26, s20, s53
	s_lshl_b64 s[18:19], s[26:27], 2
	s_waitcnt lgkmcnt(0)
	v_mov_b32_e32 v0, s19
	s_waitcnt vmcnt(1)
	v_add_co_u32_e32 v18, vcc, s18, v18
	s_waitcnt vmcnt(0)
	v_addc_co_u32_e32 v19, vcc, v19, v0, vcc
	flat_load_dword v0, v[18:19]
	s_and_saveexec_b64 s[62:63], s[6:7]
	s_cbranch_execz .LBB0_89
; %bb.74:                               ;   in Loop: Header=BB0_73 Depth=2
	v_add_co_u32_e32 v18, vcc, 1, v16
	v_addc_co_u32_e32 v19, vcc, 0, v17, vcc
	v_add_co_u32_e32 v20, vcc, 8, v54
	v_addc_co_u32_e32 v21, vcc, 0, v55, vcc
	v_cmp_lt_u64_e32 vcc, v[20:21], v[18:19]
	s_and_saveexec_b64 s[72:73], vcc
	s_cbranch_execz .LBB0_86
; %bb.75:                               ;   in Loop: Header=BB0_73 Depth=2
	s_mov_b32 s26, 0
	v_cmp_eq_u32_e32 vcc, 0, v51
	s_mov_b64 s[74:75], 0
                                        ; implicit-def: $sgpr76_sgpr77
                                        ; implicit-def: $sgpr78_sgpr79
                                        ; implicit-def: $sgpr88_sgpr89
	s_branch .LBB0_78
.LBB0_76:                               ;   in Loop: Header=BB0_78 Depth=3
	s_or_b64 exec, exec, s[34:35]
	s_andn2_b64 s[18:19], s[88:89], exec
	s_and_b64 s[88:89], s[94:95], exec
	s_or_b64 s[88:89], s[18:19], s[88:89]
	s_andn2_b64 s[18:19], s[78:79], exec
	s_and_b64 s[78:79], s[92:93], exec
	v_mov_b32_e32 v4, 0
	s_or_b64 s[78:79], s[18:19], s[78:79]
.LBB0_77:                               ;   in Loop: Header=BB0_78 Depth=3
	s_or_b64 exec, exec, s[90:91]
	s_and_b64 s[18:19], exec, s[78:79]
	s_or_b64 s[74:75], s[18:19], s[74:75]
	s_andn2_b64 s[18:19], s[76:77], exec
	s_and_b64 s[76:77], s[88:89], exec
	s_or_b64 s[76:77], s[18:19], s[76:77]
	s_andn2_b64 exec, exec, s[74:75]
	s_cbranch_execz .LBB0_83
.LBB0_78:                               ;   Parent Loop BB0_24 Depth=1
                                        ;     Parent Loop BB0_73 Depth=2
                                        ; =>    This Inner Loop Header: Depth=3
	s_sleep 1
	s_waitcnt vmcnt(0) lgkmcnt(0)
	flat_load_dwordx2 v[54:55], v[52:53] glc
	s_or_b64 s[88:89], s[88:89], exec
	s_or_b64 s[78:79], s[78:79], exec
	v_mov_b32_e32 v4, v51
                                        ; implicit-def: $vgpr2
	s_and_saveexec_b64 s[90:91], vcc
	s_cbranch_execz .LBB0_77
; %bb.79:                               ;   in Loop: Header=BB0_78 Depth=3
	s_add_i32 s26, s26, 1
	s_cmpk_lg_i32 s26, 0x2710
	s_cselect_b64 s[30:31], -1, 0
	s_cmpk_eq_i32 s26, 0x2710
	s_mov_b64 s[92:93], -1
	s_mov_b64 s[94:95], -1
                                        ; implicit-def: $vgpr2
	s_cbranch_scc1 .LBB0_81
; %bb.80:                               ;   in Loop: Header=BB0_78 Depth=3
	s_and_saveexec_b64 s[34:35], s[30:31]
	s_cbranch_execz .LBB0_76
	s_branch .LBB0_82
.LBB0_81:                               ;   in Loop: Header=BB0_78 Depth=3
	s_trap 2
	s_waitcnt vmcnt(0) lgkmcnt(0)
	ds_read_b64 v[20:21], v0
	s_andn2_b64 s[30:31], s[30:31], exec
	s_mov_b32 s26, 0
	s_mov_b64 s[94:95], 0
	s_waitcnt lgkmcnt(0)
	flat_load_dword v2, v[20:21] glc
	s_waitcnt vmcnt(0) lgkmcnt(0)
	buffer_wbinvl1_vol
	v_cmp_eq_u32_e64 s[18:19], 0, v2
	s_and_b64 s[18:19], s[18:19], exec
	s_or_b64 s[30:31], s[30:31], s[18:19]
	s_and_saveexec_b64 s[34:35], s[30:31]
	s_cbranch_execz .LBB0_76
.LBB0_82:                               ;   in Loop: Header=BB0_78 Depth=3
	s_waitcnt vmcnt(0) lgkmcnt(0)
	v_add_co_u32_e64 v20, s[18:19], 8, v54
	v_addc_co_u32_e64 v21, s[18:19], 0, v55, s[18:19]
	v_cmp_ge_u64_e64 s[18:19], v[20:21], v[18:19]
	s_or_b64 s[94:95], s[94:95], exec
	s_orn2_b64 s[92:93], s[18:19], exec
	s_branch .LBB0_76
.LBB0_83:                               ;   in Loop: Header=BB0_73 Depth=2
	s_or_b64 exec, exec, s[74:75]
	s_xor_b64 s[18:19], s[76:77], -1
	s_and_saveexec_b64 s[74:75], s[18:19]
	s_xor_b64 s[18:19], exec, s[74:75]
	s_cbranch_execz .LBB0_85
; %bb.84:                               ;   in Loop: Header=BB0_73 Depth=2
	v_mov_b32_e32 v4, 1
	s_waitcnt vmcnt(0) lgkmcnt(0)
	ds_write_b32 v0, v2
	s_trap 2
.LBB0_85:                               ;   in Loop: Header=BB0_73 Depth=2
	s_or_b64 exec, exec, s[18:19]
	v_mov_b32_e32 v51, v4
.LBB0_86:                               ;   in Loop: Header=BB0_73 Depth=2
	s_or_b64 exec, exec, s[72:73]
	s_and_saveexec_b64 s[18:19], s[8:9]
	s_cbranch_execz .LBB0_88
; %bb.87:                               ;   in Loop: Header=BB0_73 Depth=2
	v_and_b32_e32 v2, 0x7ffffff8, v16
	v_cmp_eq_u64_e32 vcc, s[44:45], v[2:3]
	buffer_load_dword v2, off, s[0:3], s32 offset:120 ; 4-byte Folded Reload
	v_and_b32_e32 v4, 7, v16
	v_mad_u64_u32 v[16:17], s[72:73], v4, 24, v[14:15]
	v_mov_b32_e32 v4, s21
	s_waitcnt vmcnt(0)
	v_cndmask_b32_e32 v20, v2, v4, vcc
	v_ashrrev_i32_e32 v21, 31, v20
	flat_store_dwordx2 v[16:17], v[20:21] offset:8
	s_waitcnt vmcnt(0)
.LBB0_88:                               ;   in Loop: Header=BB0_73 Depth=2
	s_or_b64 exec, exec, s[18:19]
	v_mov_b32_e32 v16, v18
	v_mov_b32_e32 v17, v19
.LBB0_89:                               ;   in Loop: Header=BB0_73 Depth=2
	s_or_b64 exec, exec, s[62:63]
	s_and_saveexec_b64 s[18:19], s[10:11]
	s_cbranch_execz .LBB0_108
; %bb.90:                               ;   in Loop: Header=BB0_73 Depth=2
	s_and_saveexec_b64 s[62:63], s[40:41]
	s_xor_b64 s[62:63], exec, s[62:63]
	s_cbranch_execz .LBB0_105
; %bb.91:                               ;   in Loop: Header=BB0_73 Depth=2
	s_and_saveexec_b64 s[72:73], s[12:13]
	s_cbranch_execz .LBB0_104
; %bb.92:                               ;   in Loop: Header=BB0_73 Depth=2
	s_mov_b64 s[76:77], exec
	v_mbcnt_lo_u32_b32 v2, s76, 0
	v_mbcnt_hi_u32_b32 v2, s77, v2
	v_cmp_eq_u32_e32 vcc, 0, v2
	s_waitcnt vmcnt(0) lgkmcnt(0)
	buffer_wbinvl1_vol
	s_and_saveexec_b64 s[74:75], vcc
	s_cbranch_execz .LBB0_94
; %bb.93:                               ;   in Loop: Header=BB0_73 Depth=2
	s_bcnt1_i32_b64 s26, s[76:77]
	v_mov_b32_e32 v2, s26
	ds_add_u64 v0, v[2:3]
	s_trap 2
.LBB0_94:                               ;   in Loop: Header=BB0_73 Depth=2
	s_or_b64 exec, exec, s[74:75]
	s_trap 2
	ds_read_b64 v[18:19], v0
	s_waitcnt lgkmcnt(0)
	buffer_load_dword v2, off, s[0:3], s32 offset:124 ; 4-byte Folded Reload
	s_waitcnt vmcnt(0)
	v_add_co_u32_e32 v42, vcc, v42, v2
	v_addc_co_u32_e32 v43, vcc, 0, v43, vcc
	v_cmp_lt_u64_e32 vcc, v[18:19], v[42:43]
	s_and_saveexec_b64 s[74:75], vcc
	s_cbranch_execz .LBB0_103
; %bb.95:                               ;   in Loop: Header=BB0_73 Depth=2
	s_mov_b32 s26, 0
	s_mov_b64 s[76:77], 0
                                        ; implicit-def: $sgpr78_sgpr79
                                        ; implicit-def: $sgpr88_sgpr89
	s_branch .LBB0_97
.LBB0_96:                               ;   in Loop: Header=BB0_97 Depth=3
	s_or_b64 exec, exec, s[92:93]
	s_and_b64 s[90:91], exec, s[94:95]
	s_or_b64 s[76:77], s[90:91], s[76:77]
	s_andn2_b64 s[78:79], s[78:79], exec
	s_and_b64 s[90:91], s[88:89], exec
	s_or_b64 s[78:79], s[78:79], s[90:91]
	s_andn2_b64 exec, exec, s[76:77]
	s_cbranch_execz .LBB0_101
.LBB0_97:                               ;   Parent Loop BB0_24 Depth=1
                                        ;     Parent Loop BB0_73 Depth=2
                                        ; =>    This Inner Loop Header: Depth=3
	s_add_i32 s26, s26, 1
	s_cmpk_lg_i32 s26, 0x2710
	s_cselect_b64 s[90:91], -1, 0
	s_and_b64 vcc, exec, s[90:91]
	s_cbranch_vccz .LBB0_99
; %bb.98:                               ;   in Loop: Header=BB0_97 Depth=3
	s_mov_b64 s[94:95], -1
	s_or_b64 s[88:89], s[88:89], exec
	s_and_saveexec_b64 s[92:93], s[90:91]
	s_cbranch_execz .LBB0_96
	s_branch .LBB0_100
.LBB0_99:                               ;   in Loop: Header=BB0_97 Depth=3
	s_trap 2
	ds_read_b64 v[18:19], v0
	s_andn2_b64 s[90:91], s[90:91], exec
	s_mov_b32 s26, 0
	s_waitcnt lgkmcnt(0)
	flat_load_dword v2, v[18:19] glc
	s_waitcnt vmcnt(0) lgkmcnt(0)
	buffer_wbinvl1_vol
	v_cmp_eq_u32_e32 vcc, 0, v2
	s_and_b64 s[92:93], vcc, exec
	s_or_b64 s[90:91], s[90:91], s[92:93]
	s_mov_b64 s[94:95], -1
	s_or_b64 s[88:89], s[88:89], exec
	s_and_saveexec_b64 s[92:93], s[90:91]
	s_cbranch_execz .LBB0_96
.LBB0_100:                              ;   in Loop: Header=BB0_97 Depth=3
	s_sleep 1
	s_trap 2
	ds_read_b64 v[18:19], v0
	s_waitcnt lgkmcnt(0)
	s_andn2_b64 s[88:89], s[88:89], exec
	v_cmp_ge_u64_e32 vcc, v[18:19], v[42:43]
	s_orn2_b64 s[94:95], vcc, exec
	s_branch .LBB0_96
.LBB0_101:                              ;   in Loop: Header=BB0_73 Depth=2
	s_or_b64 exec, exec, s[76:77]
	s_and_saveexec_b64 s[76:77], s[78:79]
	s_xor_b64 s[76:77], exec, s[76:77]
	s_cbranch_execz .LBB0_103
; %bb.102:                              ;   in Loop: Header=BB0_73 Depth=2
	v_mov_b32_e32 v2, 1
	ds_write_b32 v0, v2
	s_trap 2
.LBB0_103:                              ;   in Loop: Header=BB0_73 Depth=2
	s_or_b64 exec, exec, s[74:75]
	;;#ASMSTART
	s_wakeup
	;;#ASMEND
.LBB0_104:                              ;   in Loop: Header=BB0_73 Depth=2
	s_or_b64 exec, exec, s[72:73]
.LBB0_105:                              ;   in Loop: Header=BB0_73 Depth=2
	s_andn2_saveexec_b64 s[62:63], s[62:63]
	s_cbranch_execz .LBB0_107
; %bb.106:                              ;   in Loop: Header=BB0_73 Depth=2
	s_waitcnt vmcnt(0) lgkmcnt(0)
	buffer_wbinvl1_vol
	s_barrier
.LBB0_107:                              ;   in Loop: Header=BB0_73 Depth=2
	s_or_b64 exec, exec, s[62:63]
.LBB0_108:                              ;   in Loop: Header=BB0_73 Depth=2
	s_or_b64 exec, exec, s[18:19]
	buffer_load_dword v60, off, s[0:3], s32 offset:60 ; 4-byte Folded Reload
	buffer_load_dword v61, off, s[0:3], s32 offset:64 ; 4-byte Folded Reload
	v_add_u32_e32 v19, 1, v56
	s_and_saveexec_b64 s[62:63], s[16:17]
	s_cbranch_execnz .LBB0_115
; %bb.109:                              ;   in Loop: Header=BB0_73 Depth=2
	s_or_b64 exec, exec, s[62:63]
	s_and_saveexec_b64 s[18:19], s[10:11]
	s_cbranch_execnz .LBB0_422
.LBB0_110:                              ;   in Loop: Header=BB0_73 Depth=2
	s_or_b64 exec, exec, s[18:19]
	s_and_saveexec_b64 s[18:19], s[14:15]
	s_cbranch_execz .LBB0_112
.LBB0_111:                              ;   in Loop: Header=BB0_73 Depth=2
	buffer_load_dword v20, off, s[0:3], s32 offset:96 ; 4-byte Folded Reload
	buffer_load_dword v21, off, s[0:3], s32 offset:100 ; 4-byte Folded Reload
	v_add_co_u32_e32 v48, vcc, 1, v48
	v_addc_co_u32_e32 v49, vcc, 0, v49, vcc
	s_waitcnt vmcnt(0)
	flat_store_dwordx2 v[20:21], v[48:49]
.LBB0_112:                              ;   in Loop: Header=BB0_73 Depth=2
	s_or_b64 exec, exec, s[18:19]
	v_and_b32_e32 v2, 0x7ffffff8, v56
	v_cmp_eq_u64_e32 vcc, s[44:45], v[2:3]
	s_waitcnt vmcnt(0)
	v_cmp_gt_i32_e64 s[18:19], s36, v60
	s_and_b64 s[18:19], vcc, s[18:19]
	s_and_saveexec_b64 s[62:63], s[18:19]
	s_cbranch_execz .LBB0_72
; %bb.113:                              ;   in Loop: Header=BB0_73 Depth=2
	s_waitcnt lgkmcnt(0)
	v_and_b32_e32 v0, 7, v10
	v_mul_lo_u32 v20, s36, v0
	v_ashrrev_i32_e32 v61, 31, v60
	v_lshlrev_b64 v[22:23], 4, v[60:61]
	v_mov_b32_e32 v18, v3
	v_ashrrev_i32_e32 v21, 31, v20
	v_lshlrev_b64 v[20:21], 4, v[20:21]
	s_mov_b64 s[72:73], 0
	v_add_co_u32_e32 v0, vcc, v22, v20
	v_addc_co_u32_e32 v2, vcc, v23, v21, vcc
	buffer_load_dword v20, off, s[0:3], s32 offset:76 ; 4-byte Folded Reload
	buffer_load_dword v21, off, s[0:3], s32 offset:80 ; 4-byte Folded Reload
	s_waitcnt vmcnt(1)
	v_add_co_u32_e32 v22, vcc, v20, v0
	s_waitcnt vmcnt(0)
	v_addc_co_u32_e32 v23, vcc, v21, v2, vcc
.LBB0_114:                              ;   Parent Loop BB0_24 Depth=1
                                        ;     Parent Loop BB0_73 Depth=2
                                        ; =>    This Inner Loop Header: Depth=3
	v_mov_b32_e32 v20, v18
	v_mov_b32_e32 v21, v19
	v_add_u32_e32 v60, v60, v1
	global_store_dwordx4 v[22:23], v[18:21], off
	v_add_co_u32_e32 v22, vcc, v22, v44
	v_cmp_le_i32_e64 s[18:19], s36, v60
	s_or_b64 s[72:73], s[18:19], s[72:73]
	v_addc_co_u32_e32 v23, vcc, v23, v45, vcc
	s_andn2_b64 exec, exec, s[72:73]
	s_cbranch_execnz .LBB0_114
	s_branch .LBB0_72
.LBB0_115:                              ;   in Loop: Header=BB0_73 Depth=2
	buffer_load_dword v4, off, s[0:3], s32 offset:88 ; 4-byte Folded Reload
	buffer_load_dword v20, off, s[0:3], s32 offset:112 ; 4-byte Folded Reload
	;; [unrolled: 1-line block ×6, first 2 shown]
	s_waitcnt vmcnt(0) lgkmcnt(0)
	v_ashrrev_i32_e32 v2, 31, v0
	v_add_u32_e32 v34, 1, v36
	s_mov_b64 s[72:73], 0
	v_mov_b32_e32 v47, v7
	v_mul_lo_u32 v2, v4, v2
	v_mad_u64_u32 v[32:33], s[18:19], v4, v0, v[20:21]
	v_mul_lo_u32 v0, v6, v0
	v_and_b32_e32 v4, 7, v36
	v_mul_lo_u32 v20, v4, s36
	v_add3_u32 v33, v0, v33, v2
	v_and_b32_e32 v0, 7, v56
	v_mul_lo_u32 v22, v0, s36
	v_ashrrev_i32_e32 v21, 31, v20
	v_lshlrev_b64 v[20:21], 4, v[20:21]
	v_add_co_u32_e32 v11, vcc, v23, v20
	v_ashrrev_i32_e32 v23, 31, v22
	v_addc_co_u32_e32 v26, vcc, v24, v21, vcc
	v_lshlrev_b64 v[20:21], 4, v[22:23]
	buffer_load_dword v22, off, s[0:3], s32 offset:76 ; 4-byte Folded Reload
	buffer_load_dword v23, off, s[0:3], s32 offset:80 ; 4-byte Folded Reload
	buffer_load_dword v60, off, s[0:3], s32 offset:60 ; 4-byte Folded Reload
	buffer_load_dword v61, off, s[0:3], s32 offset:64 ; 4-byte Folded Reload
	s_waitcnt vmcnt(3)
	v_add_co_u32_e32 v35, vcc, v22, v20
	s_waitcnt vmcnt(2)
	v_addc_co_u32_e32 v46, vcc, v23, v21, vcc
	s_branch .LBB0_118
.LBB0_116:                              ;   in Loop: Header=BB0_118 Depth=3
	s_or_b64 exec, exec, s[74:75]
.LBB0_117:                              ;   in Loop: Header=BB0_118 Depth=3
	s_or_b64 exec, exec, s[18:19]
	v_add_co_u32_e32 v32, vcc, v32, v13
	v_addc_co_u32_e32 v33, vcc, 0, v33, vcc
	v_lshlrev_b32_e32 v0, 8, v6
	v_lshlrev_b32_e32 v2, 16, v58
	v_add_co_u32_e32 v22, vcc, v35, v61
	v_or3_b32 v0, v0, v18, v2
	v_lshlrev_b32_e32 v6, 8, v23
	v_lshlrev_b32_e32 v18, 16, v24
	v_addc_co_u32_e32 v23, vcc, v46, v62, vcc
	v_sub_u32_e32 v47, v47, v13
	v_lshlrev_b32_e32 v2, 24, v30
	v_lshlrev_b32_e32 v20, 24, v20
	v_or3_b32 v4, v6, v4, v18
	v_cmp_gt_i32_e32 vcc, 1, v47
	v_or3_b32 v18, v0, v2, 0
	v_or3_b32 v20, v4, v20, 0
	v_mov_b32_e32 v21, v19
	s_or_b64 s[72:73], vcc, s[72:73]
	v_add_u32_e32 v60, v60, v1
	global_store_dwordx4 v[22:23], v[18:21], off
	s_andn2_b64 exec, exec, s[72:73]
	s_cbranch_execz .LBB0_421
.LBB0_118:                              ;   Parent Loop BB0_24 Depth=1
                                        ;     Parent Loop BB0_73 Depth=2
                                        ; =>    This Loop Header: Depth=3
                                        ;         Child Loop BB0_126 Depth 4
	v_and_b32_e32 v20, -4, v32
	v_mov_b32_e32 v21, v33
	global_load_dword v0, v[20:21], off glc slc
	v_min_u32_e32 v2, 8, v47
	v_and_b32_e32 v4, 3, v32
	v_add_u32_e32 v2, v4, v2
	v_cmp_lt_u32_e32 vcc, 4, v2
	v_mov_b32_e32 v59, 0
	v_mov_b32_e32 v4, 0
	s_and_saveexec_b64 s[18:19], vcc
	s_cbranch_execz .LBB0_120
; %bb.119:                              ;   in Loop: Header=BB0_118 Depth=3
	global_load_dword v4, v[20:21], off offset:4 glc slc
.LBB0_120:                              ;   in Loop: Header=BB0_118 Depth=3
	s_or_b64 exec, exec, s[18:19]
	v_cmp_lt_u64_e32 vcc, 8, v[2:3]
	s_and_saveexec_b64 s[18:19], vcc
	s_cbranch_execz .LBB0_122
; %bb.121:                              ;   in Loop: Header=BB0_118 Depth=3
	global_load_dword v59, v[20:21], off offset:8 glc slc
.LBB0_122:                              ;   in Loop: Header=BB0_118 Depth=3
	s_or_b64 exec, exec, s[18:19]
	s_waitcnt vmcnt(1)
	v_ashrrev_i32_e32 v61, 31, v60
	v_lshlrev_b64 v[61:62], 4, v[60:61]
	v_add_co_u32_e32 v30, vcc, v11, v61
	v_addc_co_u32_e32 v31, vcc, v26, v62, vcc
	global_load_dwordx4 v[20:23], v[30:31], off glc slc
	v_cmp_eq_u32_e32 vcc, 0, v51
	s_and_saveexec_b64 s[74:75], vcc
	s_cbranch_execz .LBB0_134
; %bb.123:                              ;   in Loop: Header=BB0_118 Depth=3
	s_waitcnt vmcnt(0)
	v_cmp_ne_u32_e32 vcc, v34, v21
	v_cmp_ne_u32_e64 s[18:19], v34, v23
	s_or_b64 s[18:19], vcc, s[18:19]
	v_mov_b32_e32 v51, 0
	s_and_saveexec_b64 s[76:77], s[18:19]
	s_cbranch_execz .LBB0_133
; %bb.124:                              ;   in Loop: Header=BB0_118 Depth=3
	s_mov_b32 s26, 1
	s_mov_b64 s[88:89], 0
                                        ; implicit-def: $sgpr78_sgpr79
                                        ; implicit-def: $sgpr90_sgpr91
	s_branch .LBB0_126
.LBB0_125:                              ;   in Loop: Header=BB0_126 Depth=4
	s_or_b64 exec, exec, s[94:95]
	s_and_b64 s[18:19], exec, s[18:19]
	s_or_b64 s[88:89], s[18:19], s[88:89]
	s_andn2_b64 s[18:19], s[78:79], exec
	s_and_b64 s[78:79], s[90:91], exec
	s_or_b64 s[78:79], s[18:19], s[78:79]
	s_andn2_b64 exec, exec, s[88:89]
	s_cbranch_execz .LBB0_130
.LBB0_126:                              ;   Parent Loop BB0_24 Depth=1
                                        ;     Parent Loop BB0_73 Depth=2
                                        ;       Parent Loop BB0_118 Depth=3
                                        ; =>      This Inner Loop Header: Depth=4
	global_load_dwordx4 v[20:23], v[30:31], off glc slc
	s_add_i32 s26, s26, 1
	s_mov_b64 s[18:19], -1
	s_cmpk_lg_i32 s26, 0x2710
	s_mov_b64 s[92:93], -1
                                        ; implicit-def: $vgpr2
	s_cbranch_scc0 .LBB0_128
; %bb.127:                              ;   in Loop: Header=BB0_126 Depth=4
	s_or_b64 s[90:91], s[90:91], exec
	s_and_saveexec_b64 s[94:95], s[92:93]
	s_cbranch_execz .LBB0_125
	s_branch .LBB0_129
.LBB0_128:                              ;   in Loop: Header=BB0_126 Depth=4
	s_trap 2
	ds_read_b64 v[24:25], v0
	s_mov_b32 s26, 0
	s_waitcnt vmcnt(0) lgkmcnt(0)
	flat_load_dword v2, v[24:25] glc
	s_waitcnt vmcnt(0) lgkmcnt(0)
	buffer_wbinvl1_vol
	v_cmp_eq_u32_e32 vcc, 0, v2
	s_orn2_b64 s[92:93], vcc, exec
	s_or_b64 s[90:91], s[90:91], exec
	s_and_saveexec_b64 s[94:95], s[92:93]
	s_cbranch_execz .LBB0_125
.LBB0_129:                              ;   in Loop: Header=BB0_126 Depth=4
	s_waitcnt vmcnt(0)
	v_cmp_eq_u32_e32 vcc, v34, v21
	v_cmp_eq_u32_e64 s[18:19], v34, v23
	s_and_b64 s[18:19], vcc, s[18:19]
	s_andn2_b64 s[90:91], s[90:91], exec
	s_orn2_b64 s[18:19], s[18:19], exec
	s_branch .LBB0_125
.LBB0_130:                              ;   in Loop: Header=BB0_118 Depth=3
	s_or_b64 exec, exec, s[88:89]
	v_mov_b32_e32 v51, 0
	s_and_saveexec_b64 s[18:19], s[78:79]
	s_xor_b64 s[18:19], exec, s[18:19]
	s_cbranch_execz .LBB0_132
; %bb.131:                              ;   in Loop: Header=BB0_118 Depth=3
	v_mov_b32_e32 v51, 1
	ds_write_b32 v0, v2
	s_trap 2
.LBB0_132:                              ;   in Loop: Header=BB0_118 Depth=3
	s_or_b64 exec, exec, s[18:19]
.LBB0_133:                              ;   in Loop: Header=BB0_118 Depth=3
	s_or_b64 exec, exec, s[76:77]
.LBB0_134:                              ;   in Loop: Header=BB0_118 Depth=3
	s_or_b64 exec, exec, s[74:75]
	s_waitcnt vmcnt(0)
	v_cmp_ne_u16_sdwa s[74:75], v20, v3 src0_sel:BYTE_0 src1_sel:DWORD
	v_mov_b32_e32 v6, 0
	v_mov_b32_e32 v18, 0
	s_and_saveexec_b64 s[18:19], s[74:75]
	s_cbranch_execz .LBB0_142
; %bb.135:                              ;   in Loop: Header=BB0_118 Depth=3
	v_cmp_ne_u16_sdwa s[76:77], sext(v20), s38 src0_sel:BYTE_0 src1_sel:DWORD
	v_bfrev_b32_e32 v18, 1
	s_and_saveexec_b64 s[74:75], s[76:77]
	s_cbranch_execz .LBB0_141
; %bb.136:                              ;   in Loop: Header=BB0_118 Depth=3
	v_and_b32_e32 v18, 0x7c, v20
	v_and_b32_e32 v2, 3, v20
	v_cmp_ne_u32_e32 vcc, s39, v18
                                        ; implicit-def: $vgpr18
	s_and_saveexec_b64 s[76:77], vcc
	s_xor_b64 s[76:77], exec, s[76:77]
	s_cbranch_execz .LBB0_138
; %bb.137:                              ;   in Loop: Header=BB0_118 Depth=3
	v_ffbh_u32_e32 v24, v2
	v_min_u32_e32 v28, 32, v24
	v_bfe_u32 v18, v20, 2, 5
	v_subrev_u32_e32 v24, 29, v28
	v_lshlrev_b64 v[24:25], v24, v[20:21]
	v_sub_u32_e32 v21, 30, v28
	v_cmp_eq_u32_e32 vcc, 0, v18
	v_cndmask_b32_e32 v18, v18, v21, vcc
	v_lshlrev_b32_e32 v21, 24, v20
	v_and_b32_e32 v24, 3, v24
	v_and_b32_e32 v21, 0x80000000, v21
	v_cndmask_b32_e32 v2, v2, v24, vcc
	v_lshl_add_u32 v18, v18, 23, v21
	v_lshl_or_b32 v2, v2, 21, v18
	v_add_u32_e32 v18, 0x38000000, v2
                                        ; implicit-def: $vgpr2
.LBB0_138:                              ;   in Loop: Header=BB0_118 Depth=3
	s_andn2_saveexec_b64 s[76:77], s[76:77]
; %bb.139:                              ;   in Loop: Header=BB0_118 Depth=3
	v_cmp_gt_i16_sdwa vcc, sext(v20), v27 src0_sel:BYTE_0 src1_sel:DWORD
	v_cndmask_b32_e32 v18, v5, v8, vcc
	v_cmp_eq_u32_e32 vcc, 0, v2
	v_cndmask_b32_e32 v18, v9, v18, vcc
; %bb.140:                              ;   in Loop: Header=BB0_118 Depth=3
	s_or_b64 exec, exec, s[76:77]
.LBB0_141:                              ;   in Loop: Header=BB0_118 Depth=3
	s_or_b64 exec, exec, s[74:75]
.LBB0_142:                              ;   in Loop: Header=BB0_118 Depth=3
	s_or_b64 exec, exec, s[18:19]
	v_lshlrev_b32_e32 v24, 3, v32
	v_alignbit_b32 v2, v4, v0, v24
	v_cmp_ne_u16_sdwa s[74:75], v2, v3 src0_sel:BYTE_0 src1_sel:DWORD
	s_and_saveexec_b64 s[18:19], s[74:75]
	s_cbranch_execz .LBB0_150
; %bb.143:                              ;   in Loop: Header=BB0_118 Depth=3
	v_cmp_ne_u16_sdwa s[76:77], sext(v2), s38 src0_sel:BYTE_0 src1_sel:DWORD
	v_bfrev_b32_e32 v6, 1
	s_and_saveexec_b64 s[74:75], s[76:77]
	s_cbranch_execz .LBB0_149
; %bb.144:                              ;   in Loop: Header=BB0_118 Depth=3
	v_and_b32_e32 v6, 0x7c, v2
	v_and_b32_e32 v0, 3, v2
	v_cmp_ne_u32_e32 vcc, s39, v6
                                        ; implicit-def: $vgpr6
	s_and_saveexec_b64 s[76:77], vcc
	s_xor_b64 s[76:77], exec, s[76:77]
	s_cbranch_execz .LBB0_146
; %bb.145:                              ;   in Loop: Header=BB0_118 Depth=3
	v_ffbh_u32_e32 v21, v0
	v_min_u32_e32 v21, 32, v21
	v_bfe_u32 v6, v2, 2, 5
	v_subrev_u32_e32 v25, 29, v21
	v_lshlrev_b64 v[28:29], v25, v[2:3]
	v_sub_u32_e32 v21, 30, v21
	v_cmp_eq_u32_e32 vcc, 0, v6
	v_cndmask_b32_e32 v6, v6, v21, vcc
	v_lshlrev_b32_e32 v21, 24, v2
	v_and_b32_e32 v25, 3, v28
	v_and_b32_e32 v21, 0x80000000, v21
	v_cndmask_b32_e32 v0, v0, v25, vcc
	v_lshl_add_u32 v6, v6, 23, v21
	v_lshl_or_b32 v0, v0, 21, v6
	v_add_u32_e32 v6, 0x38000000, v0
                                        ; implicit-def: $vgpr0
.LBB0_146:                              ;   in Loop: Header=BB0_118 Depth=3
	s_andn2_saveexec_b64 s[76:77], s[76:77]
; %bb.147:                              ;   in Loop: Header=BB0_118 Depth=3
	v_cmp_gt_i16_sdwa vcc, sext(v2), v27 src0_sel:BYTE_0 src1_sel:DWORD
	v_cndmask_b32_e32 v6, v5, v8, vcc
	v_cmp_eq_u32_e32 vcc, 0, v0
	v_cndmask_b32_e32 v6, v9, v6, vcc
; %bb.148:                              ;   in Loop: Header=BB0_118 Depth=3
	s_or_b64 exec, exec, s[76:77]
.LBB0_149:                              ;   in Loop: Header=BB0_118 Depth=3
	s_or_b64 exec, exec, s[74:75]
.LBB0_150:                              ;   in Loop: Header=BB0_118 Depth=3
	s_or_b64 exec, exec, s[18:19]
	v_mul_f32_e32 v6, v18, v6
	v_and_b32_e32 v28, 0x7f800000, v6
	v_mov_b32_e32 v29, v3
	v_cmp_ne_u64_e32 vcc, s[56:57], v[28:29]
	v_and_b32_e32 v30, 0x7fffff, v6
	v_mov_b32_e32 v31, v3
                                        ; implicit-def: $vgpr18
	s_and_saveexec_b64 s[18:19], vcc
	s_xor_b64 s[74:75], exec, s[18:19]
	s_cbranch_execz .LBB0_164
; %bb.151:                              ;   in Loop: Header=BB0_118 Depth=3
	v_and_b32_e32 v28, 0x7fffffff, v6
	v_mov_b32_e32 v29, v3
	v_cmp_gt_u64_e32 vcc, s[58:59], v[28:29]
	v_and_b32_sdwa v0, v6, s48 dst_sel:DWORD dst_unused:UNUSED_PAD src0_sel:BYTE_3 src1_sel:DWORD
                                        ; implicit-def: $vgpr18
	s_and_saveexec_b64 s[18:19], vcc
	s_xor_b64 s[76:77], exec, s[18:19]
	s_cbranch_execz .LBB0_161
; %bb.152:                              ;   in Loop: Header=BB0_118 Depth=3
	v_mov_b32_e32 v18, 0
	v_cmp_ne_u32_e32 vcc, 0, v6
	s_and_saveexec_b64 s[78:79], vcc
	s_cbranch_execz .LBB0_160
; %bb.153:                              ;   in Loop: Header=BB0_118 Depth=3
	v_bfe_u32 v6, v6, 23, 8
	v_cmp_gt_u32_e64 s[18:19], s49, v6
	v_sub_u32_e32 v18, 0x71, v6
	v_cmp_eq_u32_e32 vcc, 0, v6
	v_cndmask_b32_e64 v18, 0, v18, s[18:19]
	v_or_b32_e32 v21, 0x800000, v30
	v_cndmask_b32_e32 v18, v18, v40, vcc
	v_cndmask_b32_e32 v30, v21, v30, vcc
	v_add_u32_e32 v21, 21, v18
	v_lshlrev_b64 v[28:29], v21, -1
	v_add_u32_e32 v21, 20, v18
	v_lshlrev_b64 v[38:39], v21, 1
	v_bfi_b32 v29, v29, 0, 0
	v_bfi_b32 v28, v28, 0, v30
	v_lshrrev_b64 v[30:31], v18, v[30:31]
	v_cmp_eq_u64_e64 s[18:19], v[28:29], v[38:39]
	v_mov_b32_e32 v28, v30
	v_mov_b32_e32 v29, v31
	s_and_saveexec_b64 s[88:89], s[18:19]
; %bb.154:                              ;   in Loop: Header=BB0_118 Depth=3
	v_bfe_u32 v21, v30, 21, 1
	v_add_co_u32_e64 v21, s[18:19], v30, v21
	v_add_co_u32_e64 v28, s[18:19], -1, v21
; %bb.155:                              ;   in Loop: Header=BB0_118 Depth=3
	s_or_b64 exec, exec, s[88:89]
	v_add_u32_e32 v6, 0xffffff81, v6
	v_cndmask_b32_e32 v6, v6, v41, vcc
	v_lshrrev_b32_e32 v21, 23, v30
	v_add3_u32 v21, v18, v6, v21
	v_add_u32_e32 v18, 14, v21
	v_and_b32_e32 v6, 0x1fffff, v28
	v_add_u32_e32 v30, v6, v30
	v_mov_b32_e32 v31, v3
	v_cmp_ne_u32_e32 vcc, 0, v18
                                        ; implicit-def: $vgpr6
	s_and_saveexec_b64 s[18:19], vcc
	s_xor_b64 s[18:19], exec, s[18:19]
; %bb.156:                              ;   in Loop: Header=BB0_118 Depth=3
	v_cmp_lt_u64_e32 vcc, s[60:61], v[30:31]
	v_add_u32_e32 v6, 15, v21
	v_cndmask_b32_e32 v6, v18, v6, vcc
	v_cndmask_b32_e64 v18, 0, 1, vcc
	v_lshrrev_b64 v[30:31], v18, v[30:31]
; %bb.157:                              ;   in Loop: Header=BB0_118 Depth=3
	s_andn2_saveexec_b64 s[18:19], s[18:19]
; %bb.158:                              ;   in Loop: Header=BB0_118 Depth=3
	v_bfe_u32 v6, v30, 23, 1
; %bb.159:                              ;   in Loop: Header=BB0_118 Depth=3
	s_or_b64 exec, exec, s[18:19]
	v_lshrrev_b64 v[28:29], 21, v[30:31]
	v_cmp_gt_i32_e32 vcc, 32, v6
	v_cndmask_b32_e32 v29, 0, v29, vcc
	v_cndmask_b32_e32 v28, 3, v28, vcc
	v_cmp_eq_u32_e32 vcc, 0, v6
	v_min_i32_e32 v6, 31, v6
	v_cmp_eq_u64_e64 s[18:19], 0, v[28:29]
	v_lshlrev_b32_e32 v6, 2, v6
	v_and_b32_e32 v6, 0xfc, v6
	v_and_or_b32 v6, v28, 3, v6
	s_and_b64 s[18:19], vcc, s[18:19]
	v_cndmask_b32_e64 v6, v6, 0, s[18:19]
	v_or_b32_e32 v18, v6, v0
.LBB0_160:                              ;   in Loop: Header=BB0_118 Depth=3
	s_or_b64 exec, exec, s[78:79]
                                        ; implicit-def: $vgpr0
.LBB0_161:                              ;   in Loop: Header=BB0_118 Depth=3
	s_andn2_saveexec_b64 s[18:19], s[76:77]
; %bb.162:                              ;   in Loop: Header=BB0_118 Depth=3
	v_or_b32_e32 v18, 0x7b, v0
; %bb.163:                              ;   in Loop: Header=BB0_118 Depth=3
	s_or_b64 exec, exec, s[18:19]
                                        ; implicit-def: $vgpr6
                                        ; implicit-def: $vgpr30_vgpr31
.LBB0_164:                              ;   in Loop: Header=BB0_118 Depth=3
	s_andn2_saveexec_b64 s[18:19], s[74:75]
	s_cbranch_execz .LBB0_170
; %bb.165:                              ;   in Loop: Header=BB0_118 Depth=3
	v_cmp_ne_u64_e32 vcc, 0, v[30:31]
                                        ; implicit-def: $vgpr18
	s_and_saveexec_b64 s[74:75], vcc
	s_xor_b64 s[74:75], exec, s[74:75]
; %bb.166:                              ;   in Loop: Header=BB0_118 Depth=3
	v_or_b32_sdwa v18, v6, s50 dst_sel:DWORD dst_unused:UNUSED_PAD src0_sel:BYTE_3 src1_sel:DWORD
                                        ; implicit-def: $vgpr6
; %bb.167:                              ;   in Loop: Header=BB0_118 Depth=3
	s_andn2_saveexec_b64 s[74:75], s[74:75]
; %bb.168:                              ;   in Loop: Header=BB0_118 Depth=3
	v_cmp_lt_i32_e32 vcc, -1, v6
	v_cndmask_b32_e32 v18, v12, v50, vcc
; %bb.169:                              ;   in Loop: Header=BB0_118 Depth=3
	s_or_b64 exec, exec, s[74:75]
.LBB0_170:                              ;   in Loop: Header=BB0_118 Depth=3
	s_or_b64 exec, exec, s[18:19]
	v_lshrrev_b16_e32 v30, 8, v20
	v_cmp_ne_u16_e32 vcc, 0, v30
	v_mov_b32_e32 v0, 0
	v_mov_b32_e32 v6, 0
	s_and_saveexec_b64 s[18:19], vcc
	s_cbranch_execz .LBB0_178
; %bb.171:                              ;   in Loop: Header=BB0_118 Depth=3
	v_cmp_ne_u16_e32 vcc, s48, v30
	v_bfrev_b32_e32 v6, 1
	s_and_saveexec_b64 s[74:75], vcc
	s_cbranch_execz .LBB0_177
; %bb.172:                              ;   in Loop: Header=BB0_118 Depth=3
	v_and_b32_e32 v6, 0x7c, v30
	v_and_b32_e32 v21, 3, v30
	v_cmp_ne_u32_e32 vcc, s39, v6
                                        ; implicit-def: $vgpr6
	s_and_saveexec_b64 s[76:77], vcc
	s_xor_b64 s[76:77], exec, s[76:77]
	s_cbranch_execz .LBB0_174
; %bb.173:                              ;   in Loop: Header=BB0_118 Depth=3
	v_ffbh_u32_e32 v25, v21
	v_min_u32_e32 v25, 32, v25
	v_mov_b32_e32 v31, v3
	v_bfe_u32 v6, v30, 2, 5
	v_subrev_u32_e32 v28, 29, v25
	v_lshlrev_b64 v[28:29], v28, v[30:31]
	v_sub_u32_e32 v25, 30, v25
	v_cmp_eq_u32_e32 vcc, 0, v6
	v_cndmask_b32_e32 v6, v6, v25, vcc
	v_lshlrev_b32_e32 v25, 16, v20
	v_and_b32_e32 v28, 3, v28
	v_and_b32_e32 v25, 0x80000000, v25
	v_cndmask_b32_e32 v21, v21, v28, vcc
	v_lshl_add_u32 v6, v6, 23, v25
	v_lshl_or_b32 v6, v21, 21, v6
	v_add_u32_e32 v6, 0x38000000, v6
                                        ; implicit-def: $vgpr21
.LBB0_174:                              ;   in Loop: Header=BB0_118 Depth=3
	s_andn2_saveexec_b64 s[76:77], s[76:77]
; %bb.175:                              ;   in Loop: Header=BB0_118 Depth=3
	v_cmp_lt_i16_e32 vcc, -1, v20
	v_cndmask_b32_e32 v6, v5, v8, vcc
	v_cmp_eq_u32_e32 vcc, 0, v21
	v_cndmask_b32_e32 v6, v9, v6, vcc
; %bb.176:                              ;   in Loop: Header=BB0_118 Depth=3
	s_or_b64 exec, exec, s[76:77]
.LBB0_177:                              ;   in Loop: Header=BB0_118 Depth=3
	s_or_b64 exec, exec, s[74:75]
.LBB0_178:                              ;   in Loop: Header=BB0_118 Depth=3
	s_or_b64 exec, exec, s[18:19]
	v_lshrrev_b16_e32 v30, 8, v2
	v_cmp_ne_u16_e32 vcc, 0, v30
	s_and_saveexec_b64 s[18:19], vcc
	s_cbranch_execz .LBB0_186
; %bb.179:                              ;   in Loop: Header=BB0_118 Depth=3
	v_cmp_ne_u16_e32 vcc, s48, v30
	v_bfrev_b32_e32 v0, 1
	s_and_saveexec_b64 s[74:75], vcc
	s_cbranch_execz .LBB0_185
; %bb.180:                              ;   in Loop: Header=BB0_118 Depth=3
	v_and_b32_e32 v0, 0x7c, v30
	v_and_b32_e32 v21, 3, v30
	v_cmp_ne_u32_e32 vcc, s39, v0
                                        ; implicit-def: $vgpr0
	s_and_saveexec_b64 s[76:77], vcc
	s_xor_b64 s[76:77], exec, s[76:77]
	s_cbranch_execz .LBB0_182
; %bb.181:                              ;   in Loop: Header=BB0_118 Depth=3
	v_ffbh_u32_e32 v25, v21
	v_min_u32_e32 v25, 32, v25
	v_mov_b32_e32 v31, v3
	v_bfe_u32 v0, v30, 2, 5
	v_subrev_u32_e32 v28, 29, v25
	v_lshlrev_b64 v[28:29], v28, v[30:31]
	v_sub_u32_e32 v25, 30, v25
	v_cmp_eq_u32_e32 vcc, 0, v0
	v_cndmask_b32_e32 v0, v0, v25, vcc
	v_lshlrev_b32_e32 v25, 16, v2
	v_and_b32_e32 v28, 3, v28
	v_and_b32_e32 v25, 0x80000000, v25
	v_cndmask_b32_e32 v21, v21, v28, vcc
	v_lshl_add_u32 v0, v0, 23, v25
	v_lshl_or_b32 v0, v21, 21, v0
	v_add_u32_e32 v0, 0x38000000, v0
                                        ; implicit-def: $vgpr21
.LBB0_182:                              ;   in Loop: Header=BB0_118 Depth=3
	s_andn2_saveexec_b64 s[76:77], s[76:77]
; %bb.183:                              ;   in Loop: Header=BB0_118 Depth=3
	v_cmp_lt_i16_e32 vcc, -1, v2
	v_cndmask_b32_e32 v0, v5, v8, vcc
	v_cmp_eq_u32_e32 vcc, 0, v21
	v_cndmask_b32_e32 v0, v9, v0, vcc
; %bb.184:                              ;   in Loop: Header=BB0_118 Depth=3
	s_or_b64 exec, exec, s[76:77]
.LBB0_185:                              ;   in Loop: Header=BB0_118 Depth=3
	s_or_b64 exec, exec, s[74:75]
.LBB0_186:                              ;   in Loop: Header=BB0_118 Depth=3
	s_or_b64 exec, exec, s[18:19]
	v_mul_f32_e32 v21, v6, v0
	v_and_b32_e32 v28, 0x7f800000, v21
	v_mov_b32_e32 v29, v3
	v_cmp_ne_u64_e32 vcc, s[56:57], v[28:29]
	v_and_b32_e32 v30, 0x7fffff, v21
	v_mov_b32_e32 v31, v3
                                        ; implicit-def: $vgpr6
	s_and_saveexec_b64 s[18:19], vcc
	s_xor_b64 s[74:75], exec, s[18:19]
	s_cbranch_execz .LBB0_200
; %bb.187:                              ;   in Loop: Header=BB0_118 Depth=3
	v_and_b32_e32 v28, 0x7fffffff, v21
	v_mov_b32_e32 v29, v3
	v_cmp_gt_u64_e32 vcc, s[58:59], v[28:29]
	v_and_b32_sdwa v0, v21, s48 dst_sel:DWORD dst_unused:UNUSED_PAD src0_sel:BYTE_3 src1_sel:DWORD
                                        ; implicit-def: $vgpr6
	s_and_saveexec_b64 s[18:19], vcc
	s_xor_b64 s[76:77], exec, s[18:19]
	s_cbranch_execz .LBB0_197
; %bb.188:                              ;   in Loop: Header=BB0_118 Depth=3
	v_mov_b32_e32 v6, 0
	v_cmp_ne_u32_e32 vcc, 0, v21
	s_and_saveexec_b64 s[78:79], vcc
	s_cbranch_execz .LBB0_196
; %bb.189:                              ;   in Loop: Header=BB0_118 Depth=3
	v_bfe_u32 v6, v21, 23, 8
	v_cmp_gt_u32_e64 s[18:19], s49, v6
	v_sub_u32_e32 v21, 0x71, v6
	v_cmp_eq_u32_e32 vcc, 0, v6
	v_cndmask_b32_e64 v21, 0, v21, s[18:19]
	v_or_b32_e32 v25, 0x800000, v30
	v_cndmask_b32_e32 v21, v21, v40, vcc
	v_cndmask_b32_e32 v30, v25, v30, vcc
	v_add_u32_e32 v25, 21, v21
	v_lshlrev_b64 v[28:29], v25, -1
	v_add_u32_e32 v25, 20, v21
	v_lshlrev_b64 v[38:39], v25, 1
	v_bfi_b32 v29, v29, 0, 0
	v_bfi_b32 v28, v28, 0, v30
	v_lshrrev_b64 v[30:31], v21, v[30:31]
	v_cmp_eq_u64_e64 s[18:19], v[28:29], v[38:39]
	v_mov_b32_e32 v28, v30
	v_mov_b32_e32 v29, v31
	s_and_saveexec_b64 s[88:89], s[18:19]
; %bb.190:                              ;   in Loop: Header=BB0_118 Depth=3
	v_bfe_u32 v25, v30, 21, 1
	v_add_co_u32_e64 v25, s[18:19], v30, v25
	v_add_co_u32_e64 v28, s[18:19], -1, v25
; %bb.191:                              ;   in Loop: Header=BB0_118 Depth=3
	s_or_b64 exec, exec, s[88:89]
	v_add_u32_e32 v6, 0xffffff81, v6
	v_cndmask_b32_e32 v6, v6, v41, vcc
	v_lshrrev_b32_e32 v25, 23, v30
	v_add3_u32 v25, v21, v6, v25
	v_add_u32_e32 v21, 14, v25
	v_and_b32_e32 v6, 0x1fffff, v28
	v_add_u32_e32 v30, v6, v30
	v_mov_b32_e32 v31, v3
	v_cmp_ne_u32_e32 vcc, 0, v21
                                        ; implicit-def: $vgpr6
	s_and_saveexec_b64 s[18:19], vcc
	s_xor_b64 s[18:19], exec, s[18:19]
; %bb.192:                              ;   in Loop: Header=BB0_118 Depth=3
	v_cmp_lt_u64_e32 vcc, s[60:61], v[30:31]
	v_add_u32_e32 v6, 15, v25
	v_cndmask_b32_e32 v6, v21, v6, vcc
	v_cndmask_b32_e64 v21, 0, 1, vcc
	v_lshrrev_b64 v[30:31], v21, v[30:31]
; %bb.193:                              ;   in Loop: Header=BB0_118 Depth=3
	s_andn2_saveexec_b64 s[18:19], s[18:19]
; %bb.194:                              ;   in Loop: Header=BB0_118 Depth=3
	v_bfe_u32 v6, v30, 23, 1
; %bb.195:                              ;   in Loop: Header=BB0_118 Depth=3
	s_or_b64 exec, exec, s[18:19]
	v_lshrrev_b64 v[28:29], 21, v[30:31]
	v_cmp_gt_i32_e32 vcc, 32, v6
	v_cndmask_b32_e32 v29, 0, v29, vcc
	v_cndmask_b32_e32 v28, 3, v28, vcc
	v_cmp_eq_u32_e32 vcc, 0, v6
	v_min_i32_e32 v6, 31, v6
	v_cmp_eq_u64_e64 s[18:19], 0, v[28:29]
	v_lshlrev_b32_e32 v6, 2, v6
	v_and_b32_e32 v6, 0xfc, v6
	v_and_or_b32 v6, v28, 3, v6
	s_and_b64 s[18:19], vcc, s[18:19]
	v_cndmask_b32_e64 v6, v6, 0, s[18:19]
	v_or_b32_e32 v6, v6, v0
.LBB0_196:                              ;   in Loop: Header=BB0_118 Depth=3
	s_or_b64 exec, exec, s[78:79]
                                        ; implicit-def: $vgpr0
.LBB0_197:                              ;   in Loop: Header=BB0_118 Depth=3
	s_andn2_saveexec_b64 s[18:19], s[76:77]
; %bb.198:                              ;   in Loop: Header=BB0_118 Depth=3
	v_or_b32_e32 v6, 0x7b, v0
; %bb.199:                              ;   in Loop: Header=BB0_118 Depth=3
	s_or_b64 exec, exec, s[18:19]
                                        ; implicit-def: $vgpr21
                                        ; implicit-def: $vgpr30_vgpr31
.LBB0_200:                              ;   in Loop: Header=BB0_118 Depth=3
	s_andn2_saveexec_b64 s[18:19], s[74:75]
	s_cbranch_execz .LBB0_206
; %bb.201:                              ;   in Loop: Header=BB0_118 Depth=3
	v_cmp_ne_u64_e32 vcc, 0, v[30:31]
                                        ; implicit-def: $vgpr6
	s_and_saveexec_b64 s[74:75], vcc
	s_xor_b64 s[74:75], exec, s[74:75]
; %bb.202:                              ;   in Loop: Header=BB0_118 Depth=3
	v_or_b32_sdwa v6, v21, s50 dst_sel:DWORD dst_unused:UNUSED_PAD src0_sel:BYTE_3 src1_sel:DWORD
                                        ; implicit-def: $vgpr21
; %bb.203:                              ;   in Loop: Header=BB0_118 Depth=3
	s_andn2_saveexec_b64 s[74:75], s[74:75]
; %bb.204:                              ;   in Loop: Header=BB0_118 Depth=3
	v_cmp_lt_i32_e32 vcc, -1, v21
	v_cndmask_b32_e32 v6, v12, v50, vcc
; %bb.205:                              ;   in Loop: Header=BB0_118 Depth=3
	s_or_b64 exec, exec, s[74:75]
.LBB0_206:                              ;   in Loop: Header=BB0_118 Depth=3
	s_or_b64 exec, exec, s[18:19]
	v_lshrrev_b32_e32 v0, 16, v20
	v_cmp_ne_u16_sdwa s[74:75], v0, v3 src0_sel:BYTE_0 src1_sel:DWORD
	v_mov_b32_e32 v25, 0
	v_mov_b32_e32 v21, 0
	s_and_saveexec_b64 s[18:19], s[74:75]
	s_cbranch_execz .LBB0_214
; %bb.207:                              ;   in Loop: Header=BB0_118 Depth=3
	v_cmp_ne_u16_sdwa s[76:77], v0, s48 src0_sel:BYTE_0 src1_sel:DWORD
	v_bfrev_b32_e32 v21, 1
	s_and_saveexec_b64 s[74:75], s[76:77]
	s_cbranch_execz .LBB0_213
; %bb.208:                              ;   in Loop: Header=BB0_118 Depth=3
	v_and_b32_e32 v21, 0x7c0000, v20
	v_bfe_u32 v28, v20, 16, 2
	v_cmp_ne_u32_e32 vcc, s51, v21
                                        ; implicit-def: $vgpr21
	s_and_saveexec_b64 s[76:77], vcc
	s_xor_b64 s[76:77], exec, s[76:77]
	s_cbranch_execz .LBB0_210
; %bb.209:                              ;   in Loop: Header=BB0_118 Depth=3
	v_ffbh_u32_e32 v29, v28
	v_min_u32_e32 v31, 32, v29
	v_subrev_u32_e32 v29, 29, v31
	v_lshlrev_b64 v[29:30], v29, v[0:1]
	v_bfe_u32 v21, v20, 18, 5
	v_sub_u32_e32 v0, 30, v31
	v_and_b32_e32 v29, 3, v29
	v_cmp_eq_u32_e32 vcc, 0, v21
	v_cndmask_b32_e32 v0, v21, v0, vcc
	v_cndmask_b32_e32 v21, v28, v29, vcc
	v_lshlrev_b32_e32 v28, 8, v20
	v_and_b32_e32 v28, 0x80000000, v28
	v_lshl_add_u32 v0, v0, 23, v28
	v_lshl_or_b32 v0, v21, 21, v0
	v_add_u32_e32 v21, 0x38000000, v0
                                        ; implicit-def: $vgpr28
                                        ; implicit-def: $vgpr0
.LBB0_210:                              ;   in Loop: Header=BB0_118 Depth=3
	s_andn2_saveexec_b64 s[76:77], s[76:77]
; %bb.211:                              ;   in Loop: Header=BB0_118 Depth=3
	v_cmp_gt_i16_sdwa vcc, sext(v0), v27 src0_sel:BYTE_0 src1_sel:DWORD
	v_cndmask_b32_e32 v0, v5, v8, vcc
	v_cmp_eq_u32_e32 vcc, 0, v28
	v_cndmask_b32_e32 v21, v9, v0, vcc
; %bb.212:                              ;   in Loop: Header=BB0_118 Depth=3
	s_or_b64 exec, exec, s[76:77]
.LBB0_213:                              ;   in Loop: Header=BB0_118 Depth=3
	s_or_b64 exec, exec, s[74:75]
.LBB0_214:                              ;   in Loop: Header=BB0_118 Depth=3
	s_or_b64 exec, exec, s[18:19]
	v_and_b32_sdwa v28, v2, s37 dst_sel:DWORD dst_unused:UNUSED_PAD src0_sel:WORD_1 src1_sel:DWORD
	v_lshrrev_b32_e32 v0, 16, v2
	v_cmp_ne_u16_e32 vcc, 0, v28
	s_and_saveexec_b64 s[18:19], vcc
	s_cbranch_execz .LBB0_222
; %bb.215:                              ;   in Loop: Header=BB0_118 Depth=3
	v_cmp_ne_u16_e32 vcc, s48, v28
	v_bfrev_b32_e32 v25, 1
	s_and_saveexec_b64 s[74:75], vcc
	s_cbranch_execz .LBB0_221
; %bb.216:                              ;   in Loop: Header=BB0_118 Depth=3
	v_and_b32_e32 v25, 0x7c0000, v2
	v_bfe_u32 v28, v2, 16, 2
	v_cmp_ne_u32_e32 vcc, s51, v25
                                        ; implicit-def: $vgpr25
	s_and_saveexec_b64 s[76:77], vcc
	s_xor_b64 s[76:77], exec, s[76:77]
	s_cbranch_execz .LBB0_218
; %bb.217:                              ;   in Loop: Header=BB0_118 Depth=3
	v_ffbh_u32_e32 v29, v28
	v_min_u32_e32 v31, 32, v29
	v_lshrrev_b32_e32 v0, 16, v2
	v_subrev_u32_e32 v29, 29, v31
	v_lshlrev_b64 v[29:30], v29, v[0:1]
	v_bfe_u32 v25, v2, 18, 5
	v_sub_u32_e32 v0, 30, v31
	v_and_b32_e32 v29, 3, v29
	v_cmp_eq_u32_e32 vcc, 0, v25
	v_cndmask_b32_e32 v0, v25, v0, vcc
	v_cndmask_b32_e32 v25, v28, v29, vcc
	v_lshlrev_b32_e32 v28, 8, v2
	v_and_b32_e32 v28, 0x80000000, v28
	v_lshl_add_u32 v0, v0, 23, v28
	v_lshl_or_b32 v0, v25, 21, v0
	v_add_u32_e32 v25, 0x38000000, v0
                                        ; implicit-def: $vgpr28
                                        ; implicit-def: $vgpr0
.LBB0_218:                              ;   in Loop: Header=BB0_118 Depth=3
	s_andn2_saveexec_b64 s[76:77], s[76:77]
; %bb.219:                              ;   in Loop: Header=BB0_118 Depth=3
	v_cmp_gt_i16_sdwa vcc, sext(v0), v27 src0_sel:BYTE_0 src1_sel:DWORD
	v_cndmask_b32_e32 v0, v5, v8, vcc
	v_cmp_eq_u32_e32 vcc, 0, v28
	v_cndmask_b32_e32 v25, v9, v0, vcc
; %bb.220:                              ;   in Loop: Header=BB0_118 Depth=3
	s_or_b64 exec, exec, s[76:77]
.LBB0_221:                              ;   in Loop: Header=BB0_118 Depth=3
	s_or_b64 exec, exec, s[74:75]
.LBB0_222:                              ;   in Loop: Header=BB0_118 Depth=3
	s_or_b64 exec, exec, s[18:19]
	v_mul_f32_e32 v21, v21, v25
	v_and_b32_e32 v28, 0x7f800000, v21
	v_mov_b32_e32 v29, v3
	v_cmp_ne_u64_e32 vcc, s[56:57], v[28:29]
	v_and_b32_e32 v30, 0x7fffff, v21
	v_mov_b32_e32 v31, v3
                                        ; implicit-def: $vgpr58
	s_and_saveexec_b64 s[18:19], vcc
	s_xor_b64 s[74:75], exec, s[18:19]
	s_cbranch_execz .LBB0_236
; %bb.223:                              ;   in Loop: Header=BB0_118 Depth=3
	v_and_b32_e32 v28, 0x7fffffff, v21
	v_mov_b32_e32 v29, v3
	v_cmp_gt_u64_e32 vcc, s[58:59], v[28:29]
	v_and_b32_sdwa v0, v21, s48 dst_sel:DWORD dst_unused:UNUSED_PAD src0_sel:BYTE_3 src1_sel:DWORD
                                        ; implicit-def: $vgpr58
	s_and_saveexec_b64 s[18:19], vcc
	s_xor_b64 s[76:77], exec, s[18:19]
	s_cbranch_execz .LBB0_233
; %bb.224:                              ;   in Loop: Header=BB0_118 Depth=3
	v_mov_b32_e32 v58, 0
	v_cmp_ne_u32_e32 vcc, 0, v21
	s_and_saveexec_b64 s[78:79], vcc
	s_cbranch_execz .LBB0_232
; %bb.225:                              ;   in Loop: Header=BB0_118 Depth=3
	v_bfe_u32 v21, v21, 23, 8
	v_cmp_gt_u32_e64 s[18:19], s49, v21
	v_sub_u32_e32 v25, 0x71, v21
	v_cmp_eq_u32_e32 vcc, 0, v21
	v_cndmask_b32_e64 v25, 0, v25, s[18:19]
	v_or_b32_e32 v28, 0x800000, v30
	v_cndmask_b32_e32 v25, v25, v40, vcc
	v_cndmask_b32_e32 v30, v28, v30, vcc
	v_add_u32_e32 v28, 21, v25
	v_lshlrev_b64 v[28:29], v28, -1
	v_add_u32_e32 v38, 20, v25
	v_lshlrev_b64 v[38:39], v38, 1
	v_bfi_b32 v29, v29, 0, 0
	v_bfi_b32 v28, v28, 0, v30
	v_lshrrev_b64 v[30:31], v25, v[30:31]
	v_cmp_eq_u64_e64 s[18:19], v[28:29], v[38:39]
	v_mov_b32_e32 v28, v30
	v_mov_b32_e32 v29, v31
	s_and_saveexec_b64 s[88:89], s[18:19]
; %bb.226:                              ;   in Loop: Header=BB0_118 Depth=3
	v_bfe_u32 v28, v30, 21, 1
	v_add_co_u32_e64 v28, s[18:19], v30, v28
	v_add_co_u32_e64 v28, s[18:19], -1, v28
; %bb.227:                              ;   in Loop: Header=BB0_118 Depth=3
	s_or_b64 exec, exec, s[88:89]
	v_add_u32_e32 v21, 0xffffff81, v21
	v_cndmask_b32_e32 v21, v21, v41, vcc
	v_lshrrev_b32_e32 v29, 23, v30
	v_add3_u32 v29, v25, v21, v29
	v_add_u32_e32 v25, 14, v29
	v_and_b32_e32 v21, 0x1fffff, v28
	v_add_u32_e32 v30, v21, v30
	v_mov_b32_e32 v31, v3
	v_cmp_ne_u32_e32 vcc, 0, v25
                                        ; implicit-def: $vgpr21
	s_and_saveexec_b64 s[18:19], vcc
	s_xor_b64 s[18:19], exec, s[18:19]
; %bb.228:                              ;   in Loop: Header=BB0_118 Depth=3
	v_cmp_lt_u64_e32 vcc, s[60:61], v[30:31]
	v_add_u32_e32 v21, 15, v29
	v_cndmask_b32_e32 v21, v25, v21, vcc
	v_cndmask_b32_e64 v25, 0, 1, vcc
	v_lshrrev_b64 v[30:31], v25, v[30:31]
; %bb.229:                              ;   in Loop: Header=BB0_118 Depth=3
	s_andn2_saveexec_b64 s[18:19], s[18:19]
; %bb.230:                              ;   in Loop: Header=BB0_118 Depth=3
	v_bfe_u32 v21, v30, 23, 1
; %bb.231:                              ;   in Loop: Header=BB0_118 Depth=3
	s_or_b64 exec, exec, s[18:19]
	v_lshrrev_b64 v[28:29], 21, v[30:31]
	v_cmp_gt_i32_e32 vcc, 32, v21
	v_cndmask_b32_e32 v29, 0, v29, vcc
	v_cndmask_b32_e32 v28, 3, v28, vcc
	v_cmp_eq_u32_e32 vcc, 0, v21
	v_min_i32_e32 v21, 31, v21
	v_cmp_eq_u64_e64 s[18:19], 0, v[28:29]
	v_lshlrev_b32_e32 v21, 2, v21
	v_and_b32_e32 v21, 0xfc, v21
	v_and_or_b32 v21, v28, 3, v21
	s_and_b64 s[18:19], vcc, s[18:19]
	v_cndmask_b32_e64 v21, v21, 0, s[18:19]
	v_or_b32_e32 v58, v21, v0
.LBB0_232:                              ;   in Loop: Header=BB0_118 Depth=3
	s_or_b64 exec, exec, s[78:79]
                                        ; implicit-def: $vgpr0
.LBB0_233:                              ;   in Loop: Header=BB0_118 Depth=3
	s_andn2_saveexec_b64 s[18:19], s[76:77]
; %bb.234:                              ;   in Loop: Header=BB0_118 Depth=3
	v_or_b32_e32 v58, 0x7b, v0
; %bb.235:                              ;   in Loop: Header=BB0_118 Depth=3
	s_or_b64 exec, exec, s[18:19]
                                        ; implicit-def: $vgpr21
                                        ; implicit-def: $vgpr30_vgpr31
.LBB0_236:                              ;   in Loop: Header=BB0_118 Depth=3
	s_andn2_saveexec_b64 s[18:19], s[74:75]
	s_cbranch_execz .LBB0_242
; %bb.237:                              ;   in Loop: Header=BB0_118 Depth=3
	v_cmp_ne_u64_e32 vcc, 0, v[30:31]
                                        ; implicit-def: $vgpr58
	s_and_saveexec_b64 s[74:75], vcc
	s_xor_b64 s[74:75], exec, s[74:75]
; %bb.238:                              ;   in Loop: Header=BB0_118 Depth=3
	v_or_b32_sdwa v58, v21, s50 dst_sel:DWORD dst_unused:UNUSED_PAD src0_sel:BYTE_3 src1_sel:DWORD
                                        ; implicit-def: $vgpr21
; %bb.239:                              ;   in Loop: Header=BB0_118 Depth=3
	s_andn2_saveexec_b64 s[74:75], s[74:75]
; %bb.240:                              ;   in Loop: Header=BB0_118 Depth=3
	v_cmp_lt_i32_e32 vcc, -1, v21
	v_cndmask_b32_e32 v58, v12, v50, vcc
; %bb.241:                              ;   in Loop: Header=BB0_118 Depth=3
	s_or_b64 exec, exec, s[74:75]
.LBB0_242:                              ;   in Loop: Header=BB0_118 Depth=3
	s_or_b64 exec, exec, s[18:19]
	v_cmp_lt_u32_e32 vcc, s47, v20
	v_mov_b32_e32 v21, 0
	v_mov_b32_e32 v25, 0
	s_and_saveexec_b64 s[18:19], vcc
	s_cbranch_execz .LBB0_250
; %bb.243:                              ;   in Loop: Header=BB0_118 Depth=3
	v_lshrrev_b32_e32 v0, 24, v20
	v_cmp_ne_u32_e32 vcc, s48, v0
	v_bfrev_b32_e32 v25, 1
	s_and_saveexec_b64 s[74:75], vcc
	s_cbranch_execz .LBB0_249
; %bb.244:                              ;   in Loop: Header=BB0_118 Depth=3
	v_and_b32_e32 v25, 0x7c000000, v20
	v_bfe_u32 v28, v20, 24, 2
	v_cmp_ne_u32_e32 vcc, s52, v25
                                        ; implicit-def: $vgpr25
	s_and_saveexec_b64 s[76:77], vcc
	s_xor_b64 s[76:77], exec, s[76:77]
	s_cbranch_execz .LBB0_246
; %bb.245:                              ;   in Loop: Header=BB0_118 Depth=3
	v_ffbh_u32_e32 v29, v28
	v_min_u32_e32 v31, 32, v29
	v_subrev_u32_e32 v29, 29, v31
	v_bfe_u32 v25, v20, 26, 5
	v_lshlrev_b64 v[29:30], v29, v[0:1]
	v_sub_u32_e32 v0, 30, v31
	v_cmp_eq_u32_e32 vcc, 0, v25
	v_and_b32_e32 v29, 3, v29
	v_cndmask_b32_e32 v0, v25, v0, vcc
	v_and_b32_e32 v20, 0x80000000, v20
	v_cndmask_b32_e32 v25, v28, v29, vcc
	v_lshl_add_u32 v0, v0, 23, v20
	v_lshl_or_b32 v0, v25, 21, v0
	v_add_u32_e32 v25, 0x38000000, v0
                                        ; implicit-def: $vgpr28
.LBB0_246:                              ;   in Loop: Header=BB0_118 Depth=3
	s_andn2_saveexec_b64 s[76:77], s[76:77]
; %bb.247:                              ;   in Loop: Header=BB0_118 Depth=3
	v_cmp_lt_i32_e32 vcc, -1, v20
	v_cndmask_b32_e32 v0, v5, v8, vcc
	v_cmp_eq_u32_e32 vcc, 0, v28
	v_cndmask_b32_e32 v25, v9, v0, vcc
; %bb.248:                              ;   in Loop: Header=BB0_118 Depth=3
	s_or_b64 exec, exec, s[76:77]
.LBB0_249:                              ;   in Loop: Header=BB0_118 Depth=3
	s_or_b64 exec, exec, s[74:75]
.LBB0_250:                              ;   in Loop: Header=BB0_118 Depth=3
	s_or_b64 exec, exec, s[18:19]
	v_cmp_lt_u32_e32 vcc, s47, v2
	s_and_saveexec_b64 s[18:19], vcc
	s_cbranch_execz .LBB0_258
; %bb.251:                              ;   in Loop: Header=BB0_118 Depth=3
	v_lshrrev_b32_e32 v0, 24, v2
	v_cmp_ne_u32_e32 vcc, s48, v0
	v_bfrev_b32_e32 v21, 1
	s_and_saveexec_b64 s[74:75], vcc
	s_cbranch_execz .LBB0_257
; %bb.252:                              ;   in Loop: Header=BB0_118 Depth=3
	v_and_b32_e32 v21, 0x7c000000, v2
	v_bfe_u32 v20, v2, 24, 2
	v_cmp_ne_u32_e32 vcc, s52, v21
                                        ; implicit-def: $vgpr21
	s_and_saveexec_b64 s[76:77], vcc
	s_xor_b64 s[76:77], exec, s[76:77]
	s_cbranch_execz .LBB0_254
; %bb.253:                              ;   in Loop: Header=BB0_118 Depth=3
	v_ffbh_u32_e32 v28, v20
	v_min_u32_e32 v30, 32, v28
	v_subrev_u32_e32 v28, 29, v30
	v_bfe_u32 v21, v2, 26, 5
	v_lshlrev_b64 v[28:29], v28, v[0:1]
	v_sub_u32_e32 v0, 30, v30
	v_cmp_eq_u32_e32 vcc, 0, v21
	v_and_b32_e32 v28, 3, v28
	v_cndmask_b32_e32 v0, v21, v0, vcc
	v_and_b32_e32 v2, 0x80000000, v2
	v_cndmask_b32_e32 v20, v20, v28, vcc
	v_lshl_add_u32 v0, v0, 23, v2
	v_lshl_or_b32 v0, v20, 21, v0
	v_add_u32_e32 v21, 0x38000000, v0
                                        ; implicit-def: $vgpr20
.LBB0_254:                              ;   in Loop: Header=BB0_118 Depth=3
	s_andn2_saveexec_b64 s[76:77], s[76:77]
; %bb.255:                              ;   in Loop: Header=BB0_118 Depth=3
	v_cmp_lt_i32_e32 vcc, -1, v2
	v_cndmask_b32_e32 v0, v5, v8, vcc
	v_cmp_eq_u32_e32 vcc, 0, v20
	v_cndmask_b32_e32 v21, v9, v0, vcc
; %bb.256:                              ;   in Loop: Header=BB0_118 Depth=3
	s_or_b64 exec, exec, s[76:77]
.LBB0_257:                              ;   in Loop: Header=BB0_118 Depth=3
	s_or_b64 exec, exec, s[74:75]
.LBB0_258:                              ;   in Loop: Header=BB0_118 Depth=3
	s_or_b64 exec, exec, s[18:19]
	v_mul_f32_e32 v20, v25, v21
	v_and_b32_e32 v28, 0x7f800000, v20
	v_mov_b32_e32 v29, v3
	v_cmp_ne_u64_e32 vcc, s[56:57], v[28:29]
	v_and_b32_e32 v2, 0x7fffff, v20
                                        ; implicit-def: $vgpr30
	s_and_saveexec_b64 s[18:19], vcc
	s_xor_b64 s[74:75], exec, s[18:19]
	s_cbranch_execz .LBB0_272
; %bb.259:                              ;   in Loop: Header=BB0_118 Depth=3
	v_and_b32_e32 v28, 0x7fffffff, v20
	v_mov_b32_e32 v29, v3
	v_cmp_gt_u64_e32 vcc, s[58:59], v[28:29]
	v_and_b32_sdwa v0, v20, s48 dst_sel:DWORD dst_unused:UNUSED_PAD src0_sel:BYTE_3 src1_sel:DWORD
                                        ; implicit-def: $vgpr30
	s_and_saveexec_b64 s[18:19], vcc
	s_xor_b64 s[76:77], exec, s[18:19]
	s_cbranch_execz .LBB0_269
; %bb.260:                              ;   in Loop: Header=BB0_118 Depth=3
	v_mov_b32_e32 v30, 0
	v_cmp_ne_u32_e32 vcc, 0, v20
	s_and_saveexec_b64 s[78:79], vcc
	s_cbranch_execz .LBB0_268
; %bb.261:                              ;   in Loop: Header=BB0_118 Depth=3
	v_bfe_u32 v25, v20, 23, 8
	v_cmp_gt_u32_e64 s[18:19], s49, v25
	v_sub_u32_e32 v20, 0x71, v25
	v_cmp_eq_u32_e32 vcc, 0, v25
	v_cndmask_b32_e64 v20, 0, v20, s[18:19]
	v_cndmask_b32_e32 v30, v20, v40, vcc
	v_or_b32_e32 v21, 0x800000, v2
	v_add_u32_e32 v20, 21, v30
	v_cndmask_b32_e32 v2, v21, v2, vcc
	v_lshlrev_b64 v[20:21], v20, -1
	v_add_u32_e32 v28, 20, v30
	v_lshlrev_b64 v[28:29], v28, 1
	v_bfi_b32 v21, v21, 0, 0
	v_bfi_b32 v20, v20, 0, v2
	v_cmp_eq_u64_e64 s[18:19], v[20:21], v[28:29]
	v_lshrrev_b64 v[20:21], v30, v[2:3]
	v_mov_b32_e32 v29, v21
	v_mov_b32_e32 v28, v20
	s_and_saveexec_b64 s[88:89], s[18:19]
; %bb.262:                              ;   in Loop: Header=BB0_118 Depth=3
	v_bfe_u32 v2, v20, 21, 1
	v_add_co_u32_e64 v2, s[18:19], v20, v2
	v_add_co_u32_e64 v28, s[18:19], -1, v2
; %bb.263:                              ;   in Loop: Header=BB0_118 Depth=3
	s_or_b64 exec, exec, s[88:89]
	v_add_u32_e32 v2, 0xffffff81, v25
	v_cndmask_b32_e32 v2, v2, v41, vcc
	v_lshrrev_b32_e32 v21, 23, v20
	v_add3_u32 v30, v30, v2, v21
	v_add_u32_e32 v29, 14, v30
	v_and_b32_e32 v2, 0x1fffff, v28
	v_add_u32_e32 v2, v2, v20
	v_cmp_ne_u32_e32 vcc, 0, v29
                                        ; implicit-def: $vgpr20_vgpr21
                                        ; implicit-def: $vgpr25
	s_and_saveexec_b64 s[18:19], vcc
	s_xor_b64 s[18:19], exec, s[18:19]
; %bb.264:                              ;   in Loop: Header=BB0_118 Depth=3
	v_cmp_lt_u64_e32 vcc, s[60:61], v[2:3]
	v_add_u32_e32 v20, 15, v30
	v_cndmask_b32_e32 v25, v29, v20, vcc
	v_cndmask_b32_e64 v20, 0, 1, vcc
	v_lshrrev_b64 v[20:21], v20, v[2:3]
; %bb.265:                              ;   in Loop: Header=BB0_118 Depth=3
	s_andn2_saveexec_b64 s[18:19], s[18:19]
; %bb.266:                              ;   in Loop: Header=BB0_118 Depth=3
	v_mov_b32_e32 v21, v3
	v_bfe_u32 v25, v2, 23, 1
	v_mov_b32_e32 v20, v2
; %bb.267:                              ;   in Loop: Header=BB0_118 Depth=3
	s_or_b64 exec, exec, s[18:19]
	v_lshrrev_b64 v[20:21], 21, v[20:21]
	v_cmp_gt_i32_e32 vcc, 32, v25
	v_cndmask_b32_e32 v21, 0, v21, vcc
	v_cndmask_b32_e32 v20, 3, v20, vcc
	v_min_i32_e32 v2, 31, v25
	v_cmp_eq_u64_e64 s[18:19], 0, v[20:21]
	v_lshlrev_b32_e32 v2, 2, v2
	v_cmp_eq_u32_e32 vcc, 0, v25
	v_and_b32_e32 v2, 0xfc, v2
	v_and_or_b32 v2, v20, 3, v2
	s_and_b64 s[18:19], vcc, s[18:19]
	v_cndmask_b32_e64 v2, v2, 0, s[18:19]
	v_or_b32_e32 v30, v2, v0
.LBB0_268:                              ;   in Loop: Header=BB0_118 Depth=3
	s_or_b64 exec, exec, s[78:79]
                                        ; implicit-def: $vgpr0
.LBB0_269:                              ;   in Loop: Header=BB0_118 Depth=3
	s_andn2_saveexec_b64 s[18:19], s[76:77]
; %bb.270:                              ;   in Loop: Header=BB0_118 Depth=3
	v_or_b32_e32 v30, 0x7b, v0
; %bb.271:                              ;   in Loop: Header=BB0_118 Depth=3
	s_or_b64 exec, exec, s[18:19]
                                        ; implicit-def: $vgpr20
.LBB0_272:                              ;   in Loop: Header=BB0_118 Depth=3
	s_andn2_saveexec_b64 s[18:19], s[74:75]
	s_cbranch_execz .LBB0_278
; %bb.273:                              ;   in Loop: Header=BB0_118 Depth=3
	v_cmp_ne_u64_e32 vcc, 0, v[2:3]
                                        ; implicit-def: $vgpr30
	s_and_saveexec_b64 s[74:75], vcc
	s_xor_b64 s[74:75], exec, s[74:75]
; %bb.274:                              ;   in Loop: Header=BB0_118 Depth=3
	v_or_b32_sdwa v30, v20, s50 dst_sel:DWORD dst_unused:UNUSED_PAD src0_sel:BYTE_3 src1_sel:DWORD
                                        ; implicit-def: $vgpr20
; %bb.275:                              ;   in Loop: Header=BB0_118 Depth=3
	s_andn2_saveexec_b64 s[74:75], s[74:75]
; %bb.276:                              ;   in Loop: Header=BB0_118 Depth=3
	v_cmp_lt_i32_e32 vcc, -1, v20
	v_cndmask_b32_e32 v30, v12, v50, vcc
; %bb.277:                              ;   in Loop: Header=BB0_118 Depth=3
	s_or_b64 exec, exec, s[74:75]
.LBB0_278:                              ;   in Loop: Header=BB0_118 Depth=3
	s_or_b64 exec, exec, s[18:19]
	v_cmp_ne_u16_sdwa s[74:75], v22, v3 src0_sel:BYTE_0 src1_sel:DWORD
	v_mov_b32_e32 v0, 0
	v_mov_b32_e32 v20, 0
	s_and_saveexec_b64 s[18:19], s[74:75]
	s_cbranch_execz .LBB0_286
; %bb.279:                              ;   in Loop: Header=BB0_118 Depth=3
	v_cmp_ne_u16_sdwa s[76:77], sext(v22), s38 src0_sel:BYTE_0 src1_sel:DWORD
	v_bfrev_b32_e32 v20, 1
	s_and_saveexec_b64 s[74:75], s[76:77]
	s_cbranch_execz .LBB0_285
; %bb.280:                              ;   in Loop: Header=BB0_118 Depth=3
	v_and_b32_e32 v20, 0x7c, v22
	v_and_b32_e32 v2, 3, v22
	v_cmp_ne_u32_e32 vcc, s39, v20
                                        ; implicit-def: $vgpr20
	s_and_saveexec_b64 s[76:77], vcc
	s_xor_b64 s[76:77], exec, s[76:77]
	s_cbranch_execz .LBB0_282
; %bb.281:                              ;   in Loop: Header=BB0_118 Depth=3
	v_ffbh_u32_e32 v20, v2
	v_min_u32_e32 v28, 32, v20
	v_subrev_u32_e32 v20, 29, v28
	v_lshlrev_b64 v[20:21], v20, v[22:23]
	v_bfe_u32 v25, v22, 2, 5
	v_and_b32_e32 v20, 3, v20
	v_cmp_eq_u32_e32 vcc, 0, v25
	v_sub_u32_e32 v21, 30, v28
	v_cndmask_b32_e32 v2, v2, v20, vcc
	v_lshlrev_b32_e32 v20, 24, v22
	v_cndmask_b32_e32 v21, v25, v21, vcc
	v_and_b32_e32 v20, 0x80000000, v20
	v_lshl_add_u32 v20, v21, 23, v20
	v_lshl_or_b32 v2, v2, 21, v20
	v_add_u32_e32 v20, 0x38000000, v2
                                        ; implicit-def: $vgpr2
.LBB0_282:                              ;   in Loop: Header=BB0_118 Depth=3
	s_andn2_saveexec_b64 s[76:77], s[76:77]
; %bb.283:                              ;   in Loop: Header=BB0_118 Depth=3
	v_cmp_gt_i16_sdwa vcc, sext(v22), v27 src0_sel:BYTE_0 src1_sel:DWORD
	v_cndmask_b32_e32 v20, v5, v8, vcc
	v_cmp_eq_u32_e32 vcc, 0, v2
	v_cndmask_b32_e32 v20, v9, v20, vcc
; %bb.284:                              ;   in Loop: Header=BB0_118 Depth=3
	s_or_b64 exec, exec, s[76:77]
.LBB0_285:                              ;   in Loop: Header=BB0_118 Depth=3
	s_or_b64 exec, exec, s[74:75]
.LBB0_286:                              ;   in Loop: Header=BB0_118 Depth=3
	s_or_b64 exec, exec, s[18:19]
	v_alignbit_b32 v2, v59, v4, v24
	v_cmp_ne_u16_sdwa s[74:75], v2, v3 src0_sel:BYTE_0 src1_sel:DWORD
	s_and_saveexec_b64 s[18:19], s[74:75]
	s_cbranch_execz .LBB0_294
; %bb.287:                              ;   in Loop: Header=BB0_118 Depth=3
	v_cmp_ne_u16_sdwa s[76:77], sext(v2), s38 src0_sel:BYTE_0 src1_sel:DWORD
	v_bfrev_b32_e32 v0, 1
	s_and_saveexec_b64 s[74:75], s[76:77]
	s_cbranch_execz .LBB0_293
; %bb.288:                              ;   in Loop: Header=BB0_118 Depth=3
	v_and_b32_e32 v0, 0x7c, v2
	v_and_b32_e32 v4, 3, v2
	v_cmp_ne_u32_e32 vcc, s39, v0
                                        ; implicit-def: $vgpr0
	s_and_saveexec_b64 s[76:77], vcc
	s_xor_b64 s[76:77], exec, s[76:77]
	s_cbranch_execz .LBB0_290
; %bb.289:                              ;   in Loop: Header=BB0_118 Depth=3
	v_ffbh_u32_e32 v21, v4
	v_min_u32_e32 v21, 32, v21
	v_bfe_u32 v0, v2, 2, 5
	v_subrev_u32_e32 v23, 29, v21
	v_lshlrev_b64 v[23:24], v23, v[2:3]
	v_sub_u32_e32 v21, 30, v21
	v_cmp_eq_u32_e32 vcc, 0, v0
	v_cndmask_b32_e32 v0, v0, v21, vcc
	v_lshlrev_b32_e32 v21, 24, v2
	v_and_b32_e32 v23, 3, v23
	v_and_b32_e32 v21, 0x80000000, v21
	v_cndmask_b32_e32 v4, v4, v23, vcc
	v_lshl_add_u32 v0, v0, 23, v21
	v_lshl_or_b32 v0, v4, 21, v0
	v_add_u32_e32 v0, 0x38000000, v0
                                        ; implicit-def: $vgpr4
.LBB0_290:                              ;   in Loop: Header=BB0_118 Depth=3
	s_andn2_saveexec_b64 s[76:77], s[76:77]
; %bb.291:                              ;   in Loop: Header=BB0_118 Depth=3
	v_cmp_gt_i16_sdwa vcc, sext(v2), v27 src0_sel:BYTE_0 src1_sel:DWORD
	v_cndmask_b32_e32 v0, v5, v8, vcc
	v_cmp_eq_u32_e32 vcc, 0, v4
	v_cndmask_b32_e32 v0, v9, v0, vcc
; %bb.292:                              ;   in Loop: Header=BB0_118 Depth=3
	s_or_b64 exec, exec, s[76:77]
.LBB0_293:                              ;   in Loop: Header=BB0_118 Depth=3
	s_or_b64 exec, exec, s[74:75]
.LBB0_294:                              ;   in Loop: Header=BB0_118 Depth=3
	s_or_b64 exec, exec, s[18:19]
	v_mul_f32_e32 v23, v20, v0
	v_and_b32_e32 v24, 0x7f800000, v23
	v_mov_b32_e32 v25, v3
	v_cmp_ne_u64_e32 vcc, s[56:57], v[24:25]
	v_and_b32_e32 v20, 0x7fffff, v23
	v_mov_b32_e32 v21, v3
                                        ; implicit-def: $vgpr4
	s_and_saveexec_b64 s[18:19], vcc
	s_xor_b64 s[74:75], exec, s[18:19]
	s_cbranch_execz .LBB0_308
; %bb.295:                              ;   in Loop: Header=BB0_118 Depth=3
	v_and_b32_e32 v24, 0x7fffffff, v23
	v_mov_b32_e32 v25, v3
	v_cmp_gt_u64_e32 vcc, s[58:59], v[24:25]
	v_and_b32_sdwa v0, v23, s48 dst_sel:DWORD dst_unused:UNUSED_PAD src0_sel:BYTE_3 src1_sel:DWORD
                                        ; implicit-def: $vgpr4
	s_and_saveexec_b64 s[18:19], vcc
	s_xor_b64 s[76:77], exec, s[18:19]
	s_cbranch_execz .LBB0_305
; %bb.296:                              ;   in Loop: Header=BB0_118 Depth=3
	v_mov_b32_e32 v4, 0
	v_cmp_ne_u32_e32 vcc, 0, v23
	s_and_saveexec_b64 s[78:79], vcc
	s_cbranch_execz .LBB0_304
; %bb.297:                              ;   in Loop: Header=BB0_118 Depth=3
	v_bfe_u32 v4, v23, 23, 8
	v_cmp_gt_u32_e64 s[18:19], s49, v4
	v_sub_u32_e32 v23, 0x71, v4
	v_cmp_eq_u32_e32 vcc, 0, v4
	v_cndmask_b32_e64 v23, 0, v23, s[18:19]
	v_or_b32_e32 v24, 0x800000, v20
	v_cndmask_b32_e32 v23, v23, v40, vcc
	v_cndmask_b32_e32 v20, v24, v20, vcc
	v_add_u32_e32 v24, 21, v23
	v_lshlrev_b64 v[24:25], v24, -1
	v_add_u32_e32 v28, 20, v23
	v_bfi_b32 v24, v24, 0, v20
	v_lshlrev_b64 v[28:29], v28, 1
	v_lshrrev_b64 v[20:21], v23, v[20:21]
	v_bfi_b32 v25, v25, 0, 0
	v_cmp_eq_u64_e64 s[18:19], v[24:25], v[28:29]
	v_mov_b32_e32 v29, v21
	v_mov_b32_e32 v28, v20
	s_and_saveexec_b64 s[88:89], s[18:19]
; %bb.298:                              ;   in Loop: Header=BB0_118 Depth=3
	v_bfe_u32 v21, v20, 21, 1
	v_add_co_u32_e64 v21, s[18:19], v20, v21
	v_add_co_u32_e64 v28, s[18:19], -1, v21
; %bb.299:                              ;   in Loop: Header=BB0_118 Depth=3
	s_or_b64 exec, exec, s[88:89]
	v_add_u32_e32 v4, 0xffffff81, v4
	v_cndmask_b32_e32 v4, v4, v41, vcc
	v_lshrrev_b32_e32 v21, 23, v20
	v_add3_u32 v24, v23, v4, v21
	v_add_u32_e32 v23, 14, v24
	v_and_b32_e32 v4, 0x1fffff, v28
	v_add_u32_e32 v20, v4, v20
	v_mov_b32_e32 v21, v3
	v_cmp_ne_u32_e32 vcc, 0, v23
                                        ; implicit-def: $vgpr4
	s_and_saveexec_b64 s[18:19], vcc
	s_xor_b64 s[18:19], exec, s[18:19]
; %bb.300:                              ;   in Loop: Header=BB0_118 Depth=3
	v_cmp_lt_u64_e32 vcc, s[60:61], v[20:21]
	v_add_u32_e32 v4, 15, v24
	v_cndmask_b32_e32 v4, v23, v4, vcc
	v_cndmask_b32_e64 v23, 0, 1, vcc
	v_lshrrev_b64 v[20:21], v23, v[20:21]
; %bb.301:                              ;   in Loop: Header=BB0_118 Depth=3
	s_andn2_saveexec_b64 s[18:19], s[18:19]
; %bb.302:                              ;   in Loop: Header=BB0_118 Depth=3
	v_bfe_u32 v4, v20, 23, 1
; %bb.303:                              ;   in Loop: Header=BB0_118 Depth=3
	s_or_b64 exec, exec, s[18:19]
	v_lshrrev_b64 v[20:21], 21, v[20:21]
	v_cmp_gt_i32_e32 vcc, 32, v4
	v_cndmask_b32_e32 v21, 0, v21, vcc
	v_cndmask_b32_e32 v20, 3, v20, vcc
	v_cmp_eq_u32_e32 vcc, 0, v4
	v_min_i32_e32 v4, 31, v4
	v_cmp_eq_u64_e64 s[18:19], 0, v[20:21]
	v_lshlrev_b32_e32 v4, 2, v4
	v_and_b32_e32 v4, 0xfc, v4
	v_and_or_b32 v4, v20, 3, v4
	s_and_b64 s[18:19], vcc, s[18:19]
	v_cndmask_b32_e64 v4, v4, 0, s[18:19]
	v_or_b32_e32 v4, v4, v0
.LBB0_304:                              ;   in Loop: Header=BB0_118 Depth=3
	s_or_b64 exec, exec, s[78:79]
                                        ; implicit-def: $vgpr0
.LBB0_305:                              ;   in Loop: Header=BB0_118 Depth=3
	s_andn2_saveexec_b64 s[18:19], s[76:77]
; %bb.306:                              ;   in Loop: Header=BB0_118 Depth=3
	v_or_b32_e32 v4, 0x7b, v0
; %bb.307:                              ;   in Loop: Header=BB0_118 Depth=3
	s_or_b64 exec, exec, s[18:19]
                                        ; implicit-def: $vgpr23
                                        ; implicit-def: $vgpr20_vgpr21
.LBB0_308:                              ;   in Loop: Header=BB0_118 Depth=3
	s_andn2_saveexec_b64 s[18:19], s[74:75]
	s_cbranch_execz .LBB0_314
; %bb.309:                              ;   in Loop: Header=BB0_118 Depth=3
	v_cmp_ne_u64_e32 vcc, 0, v[20:21]
                                        ; implicit-def: $vgpr4
	s_and_saveexec_b64 s[74:75], vcc
	s_xor_b64 s[74:75], exec, s[74:75]
; %bb.310:                              ;   in Loop: Header=BB0_118 Depth=3
	v_or_b32_sdwa v4, v23, s50 dst_sel:DWORD dst_unused:UNUSED_PAD src0_sel:BYTE_3 src1_sel:DWORD
                                        ; implicit-def: $vgpr23
; %bb.311:                              ;   in Loop: Header=BB0_118 Depth=3
	s_andn2_saveexec_b64 s[74:75], s[74:75]
; %bb.312:                              ;   in Loop: Header=BB0_118 Depth=3
	v_cmp_lt_i32_e32 vcc, -1, v23
	v_cndmask_b32_e32 v4, v12, v50, vcc
; %bb.313:                              ;   in Loop: Header=BB0_118 Depth=3
	s_or_b64 exec, exec, s[74:75]
.LBB0_314:                              ;   in Loop: Header=BB0_118 Depth=3
	s_or_b64 exec, exec, s[18:19]
	v_lshrrev_b16_e32 v20, 8, v22
	v_cmp_ne_u16_e32 vcc, 0, v20
	v_mov_b32_e32 v0, 0
	v_mov_b32_e32 v23, 0
	s_and_saveexec_b64 s[18:19], vcc
	s_cbranch_execz .LBB0_322
; %bb.315:                              ;   in Loop: Header=BB0_118 Depth=3
	v_cmp_ne_u16_e32 vcc, s48, v20
	v_bfrev_b32_e32 v23, 1
	s_and_saveexec_b64 s[74:75], vcc
	s_cbranch_execz .LBB0_321
; %bb.316:                              ;   in Loop: Header=BB0_118 Depth=3
	v_and_b32_e32 v21, 0x7c, v20
	v_and_b32_e32 v24, 3, v20
	v_cmp_ne_u32_e32 vcc, s39, v21
                                        ; implicit-def: $vgpr23
	s_and_saveexec_b64 s[76:77], vcc
	s_xor_b64 s[76:77], exec, s[76:77]
	s_cbranch_execz .LBB0_318
; %bb.317:                              ;   in Loop: Header=BB0_118 Depth=3
	v_ffbh_u32_e32 v25, v24
	v_min_u32_e32 v25, 32, v25
	v_mov_b32_e32 v21, v3
	v_subrev_u32_e32 v28, 29, v25
	v_bfe_u32 v23, v20, 2, 5
	v_lshlrev_b64 v[20:21], v28, v[20:21]
	v_sub_u32_e32 v21, 30, v25
	v_cmp_eq_u32_e32 vcc, 0, v23
	v_cndmask_b32_e32 v21, v23, v21, vcc
	v_lshlrev_b32_e32 v23, 16, v22
	v_and_b32_e32 v20, 3, v20
	v_and_b32_e32 v23, 0x80000000, v23
	v_cndmask_b32_e32 v20, v24, v20, vcc
	v_lshl_add_u32 v21, v21, 23, v23
	v_lshl_or_b32 v20, v20, 21, v21
	v_add_u32_e32 v23, 0x38000000, v20
                                        ; implicit-def: $vgpr24
.LBB0_318:                              ;   in Loop: Header=BB0_118 Depth=3
	s_andn2_saveexec_b64 s[76:77], s[76:77]
; %bb.319:                              ;   in Loop: Header=BB0_118 Depth=3
	v_cmp_lt_i16_e32 vcc, -1, v22
	v_cndmask_b32_e32 v20, v5, v8, vcc
	v_cmp_eq_u32_e32 vcc, 0, v24
	v_cndmask_b32_e32 v23, v9, v20, vcc
; %bb.320:                              ;   in Loop: Header=BB0_118 Depth=3
	s_or_b64 exec, exec, s[76:77]
.LBB0_321:                              ;   in Loop: Header=BB0_118 Depth=3
	s_or_b64 exec, exec, s[74:75]
.LBB0_322:                              ;   in Loop: Header=BB0_118 Depth=3
	s_or_b64 exec, exec, s[18:19]
	v_lshrrev_b16_e32 v20, 8, v2
	v_cmp_ne_u16_e32 vcc, 0, v20
	s_and_saveexec_b64 s[18:19], vcc
	s_cbranch_execz .LBB0_330
; %bb.323:                              ;   in Loop: Header=BB0_118 Depth=3
	v_cmp_ne_u16_e32 vcc, s48, v20
	v_bfrev_b32_e32 v0, 1
	s_and_saveexec_b64 s[74:75], vcc
	s_cbranch_execz .LBB0_329
; %bb.324:                              ;   in Loop: Header=BB0_118 Depth=3
	v_and_b32_e32 v0, 0x7c, v20
	v_and_b32_e32 v24, 3, v20
	v_cmp_ne_u32_e32 vcc, s39, v0
                                        ; implicit-def: $vgpr0
	s_and_saveexec_b64 s[76:77], vcc
	s_xor_b64 s[76:77], exec, s[76:77]
	s_cbranch_execz .LBB0_326
; %bb.325:                              ;   in Loop: Header=BB0_118 Depth=3
	v_ffbh_u32_e32 v25, v24
	v_min_u32_e32 v25, 32, v25
	v_mov_b32_e32 v21, v3
	v_subrev_u32_e32 v28, 29, v25
	v_bfe_u32 v0, v20, 2, 5
	v_lshlrev_b64 v[20:21], v28, v[20:21]
	v_sub_u32_e32 v21, 30, v25
	v_cmp_eq_u32_e32 vcc, 0, v0
	v_cndmask_b32_e32 v0, v0, v21, vcc
	v_lshlrev_b32_e32 v21, 16, v2
	v_and_b32_e32 v20, 3, v20
	v_and_b32_e32 v21, 0x80000000, v21
	v_cndmask_b32_e32 v20, v24, v20, vcc
	v_lshl_add_u32 v0, v0, 23, v21
	v_lshl_or_b32 v0, v20, 21, v0
	v_add_u32_e32 v0, 0x38000000, v0
                                        ; implicit-def: $vgpr24
.LBB0_326:                              ;   in Loop: Header=BB0_118 Depth=3
	s_andn2_saveexec_b64 s[76:77], s[76:77]
; %bb.327:                              ;   in Loop: Header=BB0_118 Depth=3
	v_cmp_lt_i16_e32 vcc, -1, v2
	v_cndmask_b32_e32 v0, v5, v8, vcc
	v_cmp_eq_u32_e32 vcc, 0, v24
	v_cndmask_b32_e32 v0, v9, v0, vcc
; %bb.328:                              ;   in Loop: Header=BB0_118 Depth=3
	s_or_b64 exec, exec, s[76:77]
.LBB0_329:                              ;   in Loop: Header=BB0_118 Depth=3
	s_or_b64 exec, exec, s[74:75]
.LBB0_330:                              ;   in Loop: Header=BB0_118 Depth=3
	s_or_b64 exec, exec, s[18:19]
	v_mul_f32_e32 v24, v23, v0
	v_and_b32_e32 v28, 0x7f800000, v24
	v_mov_b32_e32 v29, v3
	v_cmp_ne_u64_e32 vcc, s[56:57], v[28:29]
	v_and_b32_e32 v20, 0x7fffff, v24
	v_mov_b32_e32 v21, v3
                                        ; implicit-def: $vgpr23
	s_and_saveexec_b64 s[18:19], vcc
	s_xor_b64 s[74:75], exec, s[18:19]
	s_cbranch_execz .LBB0_344
; %bb.331:                              ;   in Loop: Header=BB0_118 Depth=3
	v_and_b32_e32 v28, 0x7fffffff, v24
	v_mov_b32_e32 v29, v3
	v_cmp_gt_u64_e32 vcc, s[58:59], v[28:29]
	v_and_b32_sdwa v0, v24, s48 dst_sel:DWORD dst_unused:UNUSED_PAD src0_sel:BYTE_3 src1_sel:DWORD
                                        ; implicit-def: $vgpr23
	s_and_saveexec_b64 s[18:19], vcc
	s_xor_b64 s[76:77], exec, s[18:19]
	s_cbranch_execz .LBB0_341
; %bb.332:                              ;   in Loop: Header=BB0_118 Depth=3
	v_mov_b32_e32 v23, 0
	v_cmp_ne_u32_e32 vcc, 0, v24
	s_and_saveexec_b64 s[78:79], vcc
	s_cbranch_execz .LBB0_340
; %bb.333:                              ;   in Loop: Header=BB0_118 Depth=3
	v_bfe_u32 v23, v24, 23, 8
	v_cmp_gt_u32_e64 s[18:19], s49, v23
	v_sub_u32_e32 v24, 0x71, v23
	v_cmp_eq_u32_e32 vcc, 0, v23
	v_cndmask_b32_e64 v24, 0, v24, s[18:19]
	v_or_b32_e32 v25, 0x800000, v20
	v_cndmask_b32_e32 v24, v24, v40, vcc
	v_cndmask_b32_e32 v20, v25, v20, vcc
	v_add_u32_e32 v25, 21, v24
	v_lshlrev_b64 v[28:29], v25, -1
	v_add_u32_e32 v25, 20, v24
	v_bfi_b32 v28, v28, 0, v20
	v_lshlrev_b64 v[38:39], v25, 1
	v_lshrrev_b64 v[20:21], v24, v[20:21]
	v_bfi_b32 v29, v29, 0, 0
	v_cmp_eq_u64_e64 s[18:19], v[28:29], v[38:39]
	v_mov_b32_e32 v29, v21
	v_mov_b32_e32 v28, v20
	s_and_saveexec_b64 s[88:89], s[18:19]
; %bb.334:                              ;   in Loop: Header=BB0_118 Depth=3
	v_bfe_u32 v21, v20, 21, 1
	v_add_co_u32_e64 v21, s[18:19], v20, v21
	v_add_co_u32_e64 v28, s[18:19], -1, v21
; %bb.335:                              ;   in Loop: Header=BB0_118 Depth=3
	s_or_b64 exec, exec, s[88:89]
	v_add_u32_e32 v21, 0xffffff81, v23
	v_cndmask_b32_e32 v21, v21, v41, vcc
	v_lshrrev_b32_e32 v23, 23, v20
	v_add3_u32 v25, v24, v21, v23
	v_add_u32_e32 v24, 14, v25
	v_and_b32_e32 v21, 0x1fffff, v28
	v_add_u32_e32 v20, v21, v20
	v_mov_b32_e32 v21, v3
	v_cmp_ne_u32_e32 vcc, 0, v24
                                        ; implicit-def: $vgpr23
	s_and_saveexec_b64 s[18:19], vcc
	s_xor_b64 s[18:19], exec, s[18:19]
; %bb.336:                              ;   in Loop: Header=BB0_118 Depth=3
	v_cmp_lt_u64_e32 vcc, s[60:61], v[20:21]
	v_add_u32_e32 v23, 15, v25
	v_cndmask_b32_e32 v23, v24, v23, vcc
	v_cndmask_b32_e64 v24, 0, 1, vcc
	v_lshrrev_b64 v[20:21], v24, v[20:21]
; %bb.337:                              ;   in Loop: Header=BB0_118 Depth=3
	s_andn2_saveexec_b64 s[18:19], s[18:19]
; %bb.338:                              ;   in Loop: Header=BB0_118 Depth=3
	v_bfe_u32 v23, v20, 23, 1
; %bb.339:                              ;   in Loop: Header=BB0_118 Depth=3
	s_or_b64 exec, exec, s[18:19]
	v_lshrrev_b64 v[20:21], 21, v[20:21]
	v_cmp_gt_i32_e32 vcc, 32, v23
	v_cndmask_b32_e32 v21, 0, v21, vcc
	v_cndmask_b32_e32 v20, 3, v20, vcc
	v_cmp_eq_u64_e64 s[18:19], 0, v[20:21]
	v_min_i32_e32 v21, 31, v23
	v_lshlrev_b32_e32 v21, 2, v21
	v_cmp_eq_u32_e32 vcc, 0, v23
	v_and_b32_e32 v21, 0xfc, v21
	v_and_or_b32 v20, v20, 3, v21
	s_and_b64 s[18:19], vcc, s[18:19]
	v_cndmask_b32_e64 v20, v20, 0, s[18:19]
	v_or_b32_e32 v23, v20, v0
.LBB0_340:                              ;   in Loop: Header=BB0_118 Depth=3
	s_or_b64 exec, exec, s[78:79]
                                        ; implicit-def: $vgpr0
.LBB0_341:                              ;   in Loop: Header=BB0_118 Depth=3
	s_andn2_saveexec_b64 s[18:19], s[76:77]
; %bb.342:                              ;   in Loop: Header=BB0_118 Depth=3
	v_or_b32_e32 v23, 0x7b, v0
; %bb.343:                              ;   in Loop: Header=BB0_118 Depth=3
	s_or_b64 exec, exec, s[18:19]
                                        ; implicit-def: $vgpr24
                                        ; implicit-def: $vgpr20_vgpr21
.LBB0_344:                              ;   in Loop: Header=BB0_118 Depth=3
	s_andn2_saveexec_b64 s[18:19], s[74:75]
	s_cbranch_execz .LBB0_350
; %bb.345:                              ;   in Loop: Header=BB0_118 Depth=3
	v_cmp_ne_u64_e32 vcc, 0, v[20:21]
                                        ; implicit-def: $vgpr23
	s_and_saveexec_b64 s[74:75], vcc
	s_xor_b64 s[74:75], exec, s[74:75]
; %bb.346:                              ;   in Loop: Header=BB0_118 Depth=3
	v_or_b32_sdwa v23, v24, s50 dst_sel:DWORD dst_unused:UNUSED_PAD src0_sel:BYTE_3 src1_sel:DWORD
                                        ; implicit-def: $vgpr24
; %bb.347:                              ;   in Loop: Header=BB0_118 Depth=3
	s_andn2_saveexec_b64 s[74:75], s[74:75]
; %bb.348:                              ;   in Loop: Header=BB0_118 Depth=3
	v_cmp_lt_i32_e32 vcc, -1, v24
	v_cndmask_b32_e32 v23, v12, v50, vcc
; %bb.349:                              ;   in Loop: Header=BB0_118 Depth=3
	s_or_b64 exec, exec, s[74:75]
.LBB0_350:                              ;   in Loop: Header=BB0_118 Depth=3
	s_or_b64 exec, exec, s[18:19]
	v_lshrrev_b32_e32 v0, 16, v22
	v_cmp_ne_u16_sdwa s[74:75], v0, v3 src0_sel:BYTE_0 src1_sel:DWORD
	v_mov_b32_e32 v20, 0
	v_mov_b32_e32 v21, 0
	s_and_saveexec_b64 s[18:19], s[74:75]
	s_cbranch_execz .LBB0_358
; %bb.351:                              ;   in Loop: Header=BB0_118 Depth=3
	v_cmp_ne_u16_sdwa s[76:77], v0, s48 src0_sel:BYTE_0 src1_sel:DWORD
	v_bfrev_b32_e32 v21, 1
	s_and_saveexec_b64 s[74:75], s[76:77]
	s_cbranch_execz .LBB0_357
; %bb.352:                              ;   in Loop: Header=BB0_118 Depth=3
	v_and_b32_e32 v21, 0x7c0000, v22
	v_bfe_u32 v24, v22, 16, 2
	v_cmp_ne_u32_e32 vcc, s51, v21
                                        ; implicit-def: $vgpr21
	s_and_saveexec_b64 s[76:77], vcc
	s_xor_b64 s[76:77], exec, s[76:77]
	s_cbranch_execz .LBB0_354
; %bb.353:                              ;   in Loop: Header=BB0_118 Depth=3
	v_ffbh_u32_e32 v25, v24
	v_min_u32_e32 v25, 32, v25
	v_subrev_u32_e32 v28, 29, v25
	v_lshlrev_b64 v[28:29], v28, v[0:1]
	v_bfe_u32 v21, v22, 18, 5
	v_sub_u32_e32 v0, 30, v25
	v_and_b32_e32 v25, 3, v28
	v_cmp_eq_u32_e32 vcc, 0, v21
	v_cndmask_b32_e32 v0, v21, v0, vcc
	v_cndmask_b32_e32 v21, v24, v25, vcc
	v_lshlrev_b32_e32 v24, 8, v22
	v_and_b32_e32 v24, 0x80000000, v24
	v_lshl_add_u32 v0, v0, 23, v24
	v_lshl_or_b32 v0, v21, 21, v0
	v_add_u32_e32 v21, 0x38000000, v0
                                        ; implicit-def: $vgpr24
                                        ; implicit-def: $vgpr0
.LBB0_354:                              ;   in Loop: Header=BB0_118 Depth=3
	s_andn2_saveexec_b64 s[76:77], s[76:77]
; %bb.355:                              ;   in Loop: Header=BB0_118 Depth=3
	v_cmp_gt_i16_sdwa vcc, sext(v0), v27 src0_sel:BYTE_0 src1_sel:DWORD
	v_cndmask_b32_e32 v0, v5, v8, vcc
	v_cmp_eq_u32_e32 vcc, 0, v24
	v_cndmask_b32_e32 v21, v9, v0, vcc
; %bb.356:                              ;   in Loop: Header=BB0_118 Depth=3
	s_or_b64 exec, exec, s[76:77]
.LBB0_357:                              ;   in Loop: Header=BB0_118 Depth=3
	s_or_b64 exec, exec, s[74:75]
.LBB0_358:                              ;   in Loop: Header=BB0_118 Depth=3
	s_or_b64 exec, exec, s[18:19]
	v_and_b32_sdwa v24, v2, s37 dst_sel:DWORD dst_unused:UNUSED_PAD src0_sel:WORD_1 src1_sel:DWORD
	v_lshrrev_b32_e32 v0, 16, v2
	v_cmp_ne_u16_e32 vcc, 0, v24
	s_and_saveexec_b64 s[18:19], vcc
	s_cbranch_execz .LBB0_366
; %bb.359:                              ;   in Loop: Header=BB0_118 Depth=3
	v_cmp_ne_u16_e32 vcc, s48, v24
	v_bfrev_b32_e32 v20, 1
	s_and_saveexec_b64 s[74:75], vcc
	s_cbranch_execz .LBB0_365
; %bb.360:                              ;   in Loop: Header=BB0_118 Depth=3
	v_and_b32_e32 v20, 0x7c0000, v2
	v_bfe_u32 v24, v2, 16, 2
	v_cmp_ne_u32_e32 vcc, s51, v20
                                        ; implicit-def: $vgpr20
	s_and_saveexec_b64 s[76:77], vcc
	s_xor_b64 s[76:77], exec, s[76:77]
	s_cbranch_execz .LBB0_362
; %bb.361:                              ;   in Loop: Header=BB0_118 Depth=3
	v_ffbh_u32_e32 v25, v24
	v_min_u32_e32 v25, 32, v25
	v_subrev_u32_e32 v28, 29, v25
	v_lshlrev_b64 v[28:29], v28, v[0:1]
	v_bfe_u32 v20, v2, 18, 5
	v_sub_u32_e32 v0, 30, v25
	v_and_b32_e32 v25, 3, v28
	v_cmp_eq_u32_e32 vcc, 0, v20
	v_cndmask_b32_e32 v0, v20, v0, vcc
	v_cndmask_b32_e32 v20, v24, v25, vcc
	v_lshlrev_b32_e32 v24, 8, v2
	v_and_b32_e32 v24, 0x80000000, v24
	v_lshl_add_u32 v0, v0, 23, v24
	v_lshl_or_b32 v0, v20, 21, v0
	v_add_u32_e32 v20, 0x38000000, v0
                                        ; implicit-def: $vgpr24
                                        ; implicit-def: $vgpr0
.LBB0_362:                              ;   in Loop: Header=BB0_118 Depth=3
	s_andn2_saveexec_b64 s[76:77], s[76:77]
; %bb.363:                              ;   in Loop: Header=BB0_118 Depth=3
	v_cmp_gt_i16_sdwa vcc, sext(v0), v27 src0_sel:BYTE_0 src1_sel:DWORD
	v_cndmask_b32_e32 v0, v5, v8, vcc
	v_cmp_eq_u32_e32 vcc, 0, v24
	v_cndmask_b32_e32 v20, v9, v0, vcc
; %bb.364:                              ;   in Loop: Header=BB0_118 Depth=3
	s_or_b64 exec, exec, s[76:77]
.LBB0_365:                              ;   in Loop: Header=BB0_118 Depth=3
	s_or_b64 exec, exec, s[74:75]
.LBB0_366:                              ;   in Loop: Header=BB0_118 Depth=3
	s_or_b64 exec, exec, s[18:19]
	v_mul_f32_e32 v25, v21, v20
	v_and_b32_e32 v28, 0x7f800000, v25
	v_mov_b32_e32 v29, v3
	v_cmp_ne_u64_e32 vcc, s[56:57], v[28:29]
	v_and_b32_e32 v20, 0x7fffff, v25
	v_mov_b32_e32 v21, v3
                                        ; implicit-def: $vgpr24
	s_and_saveexec_b64 s[18:19], vcc
	s_xor_b64 s[74:75], exec, s[18:19]
	s_cbranch_execz .LBB0_380
; %bb.367:                              ;   in Loop: Header=BB0_118 Depth=3
	v_and_b32_e32 v28, 0x7fffffff, v25
	v_mov_b32_e32 v29, v3
	v_cmp_gt_u64_e32 vcc, s[58:59], v[28:29]
	v_and_b32_sdwa v0, v25, s48 dst_sel:DWORD dst_unused:UNUSED_PAD src0_sel:BYTE_3 src1_sel:DWORD
                                        ; implicit-def: $vgpr24
	s_and_saveexec_b64 s[18:19], vcc
	s_xor_b64 s[76:77], exec, s[18:19]
	s_cbranch_execz .LBB0_377
; %bb.368:                              ;   in Loop: Header=BB0_118 Depth=3
	v_mov_b32_e32 v24, 0
	v_cmp_ne_u32_e32 vcc, 0, v25
	s_and_saveexec_b64 s[78:79], vcc
	s_cbranch_execz .LBB0_376
; %bb.369:                              ;   in Loop: Header=BB0_118 Depth=3
	v_bfe_u32 v24, v25, 23, 8
	v_cmp_gt_u32_e64 s[18:19], s49, v24
	v_sub_u32_e32 v25, 0x71, v24
	v_cmp_eq_u32_e32 vcc, 0, v24
	v_cndmask_b32_e64 v25, 0, v25, s[18:19]
	v_or_b32_e32 v28, 0x800000, v20
	v_cndmask_b32_e32 v25, v25, v40, vcc
	v_cndmask_b32_e32 v20, v28, v20, vcc
	v_add_u32_e32 v28, 21, v25
	v_lshlrev_b64 v[28:29], v28, -1
	v_add_u32_e32 v31, 20, v25
	v_bfi_b32 v28, v28, 0, v20
	v_lshlrev_b64 v[38:39], v31, 1
	v_lshrrev_b64 v[20:21], v25, v[20:21]
	v_bfi_b32 v29, v29, 0, 0
	v_cmp_eq_u64_e64 s[18:19], v[28:29], v[38:39]
	v_mov_b32_e32 v29, v21
	v_mov_b32_e32 v28, v20
	s_and_saveexec_b64 s[88:89], s[18:19]
; %bb.370:                              ;   in Loop: Header=BB0_118 Depth=3
	v_bfe_u32 v21, v20, 21, 1
	v_add_co_u32_e64 v21, s[18:19], v20, v21
	v_add_co_u32_e64 v28, s[18:19], -1, v21
; %bb.371:                              ;   in Loop: Header=BB0_118 Depth=3
	s_or_b64 exec, exec, s[88:89]
	v_add_u32_e32 v21, 0xffffff81, v24
	v_cndmask_b32_e32 v21, v21, v41, vcc
	v_lshrrev_b32_e32 v24, 23, v20
	v_add3_u32 v29, v25, v21, v24
	v_add_u32_e32 v25, 14, v29
	v_and_b32_e32 v21, 0x1fffff, v28
	v_add_u32_e32 v20, v21, v20
	v_mov_b32_e32 v21, v3
	v_cmp_ne_u32_e32 vcc, 0, v25
                                        ; implicit-def: $vgpr24
	s_and_saveexec_b64 s[18:19], vcc
	s_xor_b64 s[18:19], exec, s[18:19]
; %bb.372:                              ;   in Loop: Header=BB0_118 Depth=3
	v_cmp_lt_u64_e32 vcc, s[60:61], v[20:21]
	v_add_u32_e32 v24, 15, v29
	v_cndmask_b32_e32 v24, v25, v24, vcc
	v_cndmask_b32_e64 v25, 0, 1, vcc
	v_lshrrev_b64 v[20:21], v25, v[20:21]
; %bb.373:                              ;   in Loop: Header=BB0_118 Depth=3
	s_andn2_saveexec_b64 s[18:19], s[18:19]
; %bb.374:                              ;   in Loop: Header=BB0_118 Depth=3
	v_bfe_u32 v24, v20, 23, 1
; %bb.375:                              ;   in Loop: Header=BB0_118 Depth=3
	s_or_b64 exec, exec, s[18:19]
	v_lshrrev_b64 v[20:21], 21, v[20:21]
	v_cmp_gt_i32_e32 vcc, 32, v24
	v_cndmask_b32_e32 v21, 0, v21, vcc
	v_cndmask_b32_e32 v20, 3, v20, vcc
	v_cmp_eq_u64_e64 s[18:19], 0, v[20:21]
	v_min_i32_e32 v21, 31, v24
	v_lshlrev_b32_e32 v21, 2, v21
	v_cmp_eq_u32_e32 vcc, 0, v24
	v_and_b32_e32 v21, 0xfc, v21
	v_and_or_b32 v20, v20, 3, v21
	s_and_b64 s[18:19], vcc, s[18:19]
	v_cndmask_b32_e64 v20, v20, 0, s[18:19]
	v_or_b32_e32 v24, v20, v0
.LBB0_376:                              ;   in Loop: Header=BB0_118 Depth=3
	s_or_b64 exec, exec, s[78:79]
                                        ; implicit-def: $vgpr0
.LBB0_377:                              ;   in Loop: Header=BB0_118 Depth=3
	s_andn2_saveexec_b64 s[18:19], s[76:77]
; %bb.378:                              ;   in Loop: Header=BB0_118 Depth=3
	v_or_b32_e32 v24, 0x7b, v0
; %bb.379:                              ;   in Loop: Header=BB0_118 Depth=3
	s_or_b64 exec, exec, s[18:19]
                                        ; implicit-def: $vgpr25
                                        ; implicit-def: $vgpr20_vgpr21
.LBB0_380:                              ;   in Loop: Header=BB0_118 Depth=3
	s_andn2_saveexec_b64 s[18:19], s[74:75]
	s_cbranch_execz .LBB0_386
; %bb.381:                              ;   in Loop: Header=BB0_118 Depth=3
	v_cmp_ne_u64_e32 vcc, 0, v[20:21]
                                        ; implicit-def: $vgpr24
	s_and_saveexec_b64 s[74:75], vcc
	s_xor_b64 s[74:75], exec, s[74:75]
; %bb.382:                              ;   in Loop: Header=BB0_118 Depth=3
	v_or_b32_sdwa v24, v25, s50 dst_sel:DWORD dst_unused:UNUSED_PAD src0_sel:BYTE_3 src1_sel:DWORD
                                        ; implicit-def: $vgpr25
; %bb.383:                              ;   in Loop: Header=BB0_118 Depth=3
	s_andn2_saveexec_b64 s[74:75], s[74:75]
; %bb.384:                              ;   in Loop: Header=BB0_118 Depth=3
	v_cmp_lt_i32_e32 vcc, -1, v25
	v_cndmask_b32_e32 v24, v12, v50, vcc
; %bb.385:                              ;   in Loop: Header=BB0_118 Depth=3
	s_or_b64 exec, exec, s[74:75]
.LBB0_386:                              ;   in Loop: Header=BB0_118 Depth=3
	s_or_b64 exec, exec, s[18:19]
	v_mov_b32_e32 v21, v3
	v_cmp_lt_u64_e32 vcc, s[46:47], v[21:22]
	v_mov_b32_e32 v20, 0
	v_mov_b32_e32 v25, 0
	s_and_saveexec_b64 s[18:19], vcc
	s_cbranch_execz .LBB0_394
; %bb.387:                              ;   in Loop: Header=BB0_118 Depth=3
	v_lshrrev_b32_e32 v0, 24, v22
	v_cmp_ne_u32_e32 vcc, s48, v0
	v_bfrev_b32_e32 v25, 1
	s_and_saveexec_b64 s[74:75], vcc
	s_cbranch_execz .LBB0_393
; %bb.388:                              ;   in Loop: Header=BB0_118 Depth=3
	v_and_b32_e32 v25, 0x7c000000, v22
	v_bfe_u32 v28, v22, 24, 2
	v_cmp_ne_u32_e32 vcc, s52, v25
                                        ; implicit-def: $vgpr25
	s_and_saveexec_b64 s[76:77], vcc
	s_xor_b64 s[76:77], exec, s[76:77]
	s_cbranch_execz .LBB0_390
; %bb.389:                              ;   in Loop: Header=BB0_118 Depth=3
	v_ffbh_u32_e32 v25, v28
	v_min_u32_e32 v25, 32, v25
	v_subrev_u32_e32 v29, 29, v25
	v_bfe_u32 v21, v22, 26, 5
	v_lshlrev_b64 v[38:39], v29, v[0:1]
	v_sub_u32_e32 v0, 30, v25
	v_cmp_eq_u32_e32 vcc, 0, v21
	v_and_b32_e32 v25, 3, v38
	v_cndmask_b32_e32 v0, v21, v0, vcc
	v_and_b32_e32 v22, 0x80000000, v22
	v_cndmask_b32_e32 v21, v28, v25, vcc
	v_lshl_add_u32 v0, v0, 23, v22
	v_lshl_or_b32 v0, v21, 21, v0
	v_add_u32_e32 v25, 0x38000000, v0
                                        ; implicit-def: $vgpr28
                                        ; implicit-def: $vgpr21_vgpr22
.LBB0_390:                              ;   in Loop: Header=BB0_118 Depth=3
	s_andn2_saveexec_b64 s[76:77], s[76:77]
; %bb.391:                              ;   in Loop: Header=BB0_118 Depth=3
	v_cmp_lt_i64_e32 vcc, -1, v[21:22]
	v_cndmask_b32_e32 v0, v5, v8, vcc
	v_cmp_eq_u32_e32 vcc, 0, v28
	v_cndmask_b32_e32 v25, v9, v0, vcc
; %bb.392:                              ;   in Loop: Header=BB0_118 Depth=3
	s_or_b64 exec, exec, s[76:77]
.LBB0_393:                              ;   in Loop: Header=BB0_118 Depth=3
	s_or_b64 exec, exec, s[74:75]
.LBB0_394:                              ;   in Loop: Header=BB0_118 Depth=3
	s_or_b64 exec, exec, s[18:19]
	v_cmp_lt_u32_e32 vcc, s47, v2
	s_and_saveexec_b64 s[18:19], vcc
	s_cbranch_execz .LBB0_402
; %bb.395:                              ;   in Loop: Header=BB0_118 Depth=3
	v_lshrrev_b32_e32 v0, 24, v2
	v_cmp_ne_u32_e32 vcc, s48, v0
	v_bfrev_b32_e32 v20, 1
	s_and_saveexec_b64 s[74:75], vcc
	s_cbranch_execz .LBB0_401
; %bb.396:                              ;   in Loop: Header=BB0_118 Depth=3
	v_and_b32_e32 v20, 0x7c000000, v2
	v_bfe_u32 v21, v2, 24, 2
	v_cmp_ne_u32_e32 vcc, s52, v20
                                        ; implicit-def: $vgpr20
	s_and_saveexec_b64 s[76:77], vcc
	s_xor_b64 s[76:77], exec, s[76:77]
	s_cbranch_execz .LBB0_398
; %bb.397:                              ;   in Loop: Header=BB0_118 Depth=3
	v_ffbh_u32_e32 v22, v21
	v_min_u32_e32 v22, 32, v22
	v_subrev_u32_e32 v28, 29, v22
	v_bfe_u32 v20, v2, 26, 5
	v_lshlrev_b64 v[28:29], v28, v[0:1]
	v_sub_u32_e32 v0, 30, v22
	v_cmp_eq_u32_e32 vcc, 0, v20
	v_and_b32_e32 v22, 3, v28
	v_cndmask_b32_e32 v0, v20, v0, vcc
	v_and_b32_e32 v2, 0x80000000, v2
	v_cndmask_b32_e32 v20, v21, v22, vcc
	v_lshl_add_u32 v0, v0, 23, v2
	v_lshl_or_b32 v0, v20, 21, v0
	v_add_u32_e32 v20, 0x38000000, v0
                                        ; implicit-def: $vgpr21
.LBB0_398:                              ;   in Loop: Header=BB0_118 Depth=3
	s_andn2_saveexec_b64 s[76:77], s[76:77]
; %bb.399:                              ;   in Loop: Header=BB0_118 Depth=3
	v_cmp_lt_i32_e32 vcc, -1, v2
	v_cndmask_b32_e32 v0, v5, v8, vcc
	v_cmp_eq_u32_e32 vcc, 0, v21
	v_cndmask_b32_e32 v20, v9, v0, vcc
; %bb.400:                              ;   in Loop: Header=BB0_118 Depth=3
	s_or_b64 exec, exec, s[76:77]
.LBB0_401:                              ;   in Loop: Header=BB0_118 Depth=3
	s_or_b64 exec, exec, s[74:75]
.LBB0_402:                              ;   in Loop: Header=BB0_118 Depth=3
	s_or_b64 exec, exec, s[18:19]
	v_mul_f32_e32 v21, v25, v20
	v_and_b32_e32 v28, 0x7f800000, v21
	v_mov_b32_e32 v29, v3
	v_cmp_ne_u64_e32 vcc, s[56:57], v[28:29]
	v_and_b32_e32 v2, 0x7fffff, v21
                                        ; implicit-def: $vgpr20
	s_and_saveexec_b64 s[18:19], vcc
	s_xor_b64 s[74:75], exec, s[18:19]
	s_cbranch_execz .LBB0_416
; %bb.403:                              ;   in Loop: Header=BB0_118 Depth=3
	v_and_b32_e32 v28, 0x7fffffff, v21
	v_mov_b32_e32 v29, v3
	v_cmp_gt_u64_e32 vcc, s[58:59], v[28:29]
	v_and_b32_sdwa v0, v21, s48 dst_sel:DWORD dst_unused:UNUSED_PAD src0_sel:BYTE_3 src1_sel:DWORD
                                        ; implicit-def: $vgpr20
	s_and_saveexec_b64 s[18:19], vcc
	s_xor_b64 s[76:77], exec, s[18:19]
	s_cbranch_execz .LBB0_413
; %bb.404:                              ;   in Loop: Header=BB0_118 Depth=3
	v_mov_b32_e32 v20, 0
	v_cmp_ne_u32_e32 vcc, 0, v21
	s_and_saveexec_b64 s[78:79], vcc
	s_cbranch_execz .LBB0_412
; %bb.405:                              ;   in Loop: Header=BB0_118 Depth=3
	v_bfe_u32 v25, v21, 23, 8
	v_cmp_gt_u32_e64 s[18:19], s49, v25
	v_sub_u32_e32 v20, 0x71, v25
	v_cmp_eq_u32_e32 vcc, 0, v25
	v_cndmask_b32_e64 v20, 0, v20, s[18:19]
	v_cndmask_b32_e32 v28, v20, v40, vcc
	v_or_b32_e32 v21, 0x800000, v2
	v_add_u32_e32 v20, 21, v28
	v_cndmask_b32_e32 v2, v21, v2, vcc
	v_lshlrev_b64 v[20:21], v20, -1
	v_add_u32_e32 v22, 20, v28
	v_lshlrev_b64 v[38:39], v22, 1
	v_bfi_b32 v21, v21, 0, 0
	v_bfi_b32 v20, v20, 0, v2
	v_cmp_eq_u64_e64 s[18:19], v[20:21], v[38:39]
	v_lshrrev_b64 v[20:21], v28, v[2:3]
	v_mov_b32_e32 v22, v21
	v_mov_b32_e32 v21, v20
	s_and_saveexec_b64 s[88:89], s[18:19]
; %bb.406:                              ;   in Loop: Header=BB0_118 Depth=3
	v_bfe_u32 v2, v20, 21, 1
	v_add_co_u32_e64 v2, s[18:19], v20, v2
	v_add_co_u32_e64 v21, s[18:19], -1, v2
; %bb.407:                              ;   in Loop: Header=BB0_118 Depth=3
	s_or_b64 exec, exec, s[88:89]
	v_add_u32_e32 v2, 0xffffff81, v25
	v_cndmask_b32_e32 v2, v2, v41, vcc
	v_lshrrev_b32_e32 v22, 23, v20
	v_add3_u32 v28, v28, v2, v22
	v_add_u32_e32 v25, 14, v28
	v_and_b32_e32 v2, 0x1fffff, v21
	v_add_u32_e32 v2, v2, v20
	v_cmp_ne_u32_e32 vcc, 0, v25
                                        ; implicit-def: $vgpr20_vgpr21
                                        ; implicit-def: $vgpr22
	s_and_saveexec_b64 s[18:19], vcc
	s_xor_b64 s[18:19], exec, s[18:19]
; %bb.408:                              ;   in Loop: Header=BB0_118 Depth=3
	v_cmp_lt_u64_e32 vcc, s[60:61], v[2:3]
	v_add_u32_e32 v20, 15, v28
	v_cndmask_b32_e32 v22, v25, v20, vcc
	v_cndmask_b32_e64 v20, 0, 1, vcc
	v_lshrrev_b64 v[20:21], v20, v[2:3]
; %bb.409:                              ;   in Loop: Header=BB0_118 Depth=3
	s_andn2_saveexec_b64 s[18:19], s[18:19]
; %bb.410:                              ;   in Loop: Header=BB0_118 Depth=3
	v_mov_b32_e32 v21, v3
	v_bfe_u32 v22, v2, 23, 1
	v_mov_b32_e32 v20, v2
; %bb.411:                              ;   in Loop: Header=BB0_118 Depth=3
	s_or_b64 exec, exec, s[18:19]
	v_lshrrev_b64 v[20:21], 21, v[20:21]
	v_cmp_gt_i32_e32 vcc, 32, v22
	v_cndmask_b32_e32 v21, 0, v21, vcc
	v_cndmask_b32_e32 v20, 3, v20, vcc
	v_min_i32_e32 v2, 31, v22
	v_cmp_eq_u64_e64 s[18:19], 0, v[20:21]
	v_lshlrev_b32_e32 v2, 2, v2
	v_cmp_eq_u32_e32 vcc, 0, v22
	v_and_b32_e32 v2, 0xfc, v2
	v_and_or_b32 v2, v20, 3, v2
	s_and_b64 s[18:19], vcc, s[18:19]
	v_cndmask_b32_e64 v2, v2, 0, s[18:19]
	v_or_b32_e32 v20, v2, v0
.LBB0_412:                              ;   in Loop: Header=BB0_118 Depth=3
	s_or_b64 exec, exec, s[78:79]
                                        ; implicit-def: $vgpr0
.LBB0_413:                              ;   in Loop: Header=BB0_118 Depth=3
	s_andn2_saveexec_b64 s[18:19], s[76:77]
; %bb.414:                              ;   in Loop: Header=BB0_118 Depth=3
	v_or_b32_e32 v20, 0x7b, v0
; %bb.415:                              ;   in Loop: Header=BB0_118 Depth=3
	s_or_b64 exec, exec, s[18:19]
                                        ; implicit-def: $vgpr21
.LBB0_416:                              ;   in Loop: Header=BB0_118 Depth=3
	s_andn2_saveexec_b64 s[18:19], s[74:75]
	s_cbranch_execz .LBB0_117
; %bb.417:                              ;   in Loop: Header=BB0_118 Depth=3
	v_cmp_ne_u64_e32 vcc, 0, v[2:3]
                                        ; implicit-def: $vgpr20
	s_and_saveexec_b64 s[74:75], vcc
	s_xor_b64 s[74:75], exec, s[74:75]
; %bb.418:                              ;   in Loop: Header=BB0_118 Depth=3
	v_or_b32_sdwa v20, v21, s50 dst_sel:DWORD dst_unused:UNUSED_PAD src0_sel:BYTE_3 src1_sel:DWORD
                                        ; implicit-def: $vgpr21
; %bb.419:                              ;   in Loop: Header=BB0_118 Depth=3
	s_andn2_saveexec_b64 s[74:75], s[74:75]
	s_cbranch_execz .LBB0_116
; %bb.420:                              ;   in Loop: Header=BB0_118 Depth=3
	v_cmp_lt_i32_e32 vcc, -1, v21
	v_cndmask_b32_e32 v20, v12, v50, vcc
	s_branch .LBB0_116
.LBB0_421:                              ;   in Loop: Header=BB0_73 Depth=2
	s_or_b64 exec, exec, s[72:73]
	s_or_b64 exec, exec, s[62:63]
	s_and_saveexec_b64 s[18:19], s[10:11]
	s_cbranch_execz .LBB0_110
.LBB0_422:                              ;   in Loop: Header=BB0_73 Depth=2
	s_and_saveexec_b64 s[62:63], s[40:41]
	s_xor_b64 s[62:63], exec, s[62:63]
	s_cbranch_execz .LBB0_437
; %bb.423:                              ;   in Loop: Header=BB0_73 Depth=2
	s_and_saveexec_b64 s[72:73], s[12:13]
	s_cbranch_execz .LBB0_436
; %bb.424:                              ;   in Loop: Header=BB0_73 Depth=2
	s_mov_b64 s[76:77], exec
	s_waitcnt vmcnt(0) lgkmcnt(0)
	v_mbcnt_lo_u32_b32 v0, s76, 0
	v_mbcnt_hi_u32_b32 v0, s77, v0
	v_cmp_eq_u32_e32 vcc, 0, v0
	buffer_wbinvl1_vol
	s_and_saveexec_b64 s[74:75], vcc
	s_cbranch_execz .LBB0_426
; %bb.425:                              ;   in Loop: Header=BB0_73 Depth=2
	s_bcnt1_i32_b64 s26, s[76:77]
	v_mov_b32_e32 v2, s26
	ds_add_u64 v0, v[2:3]
	s_trap 2
.LBB0_426:                              ;   in Loop: Header=BB0_73 Depth=2
	s_or_b64 exec, exec, s[74:75]
	s_trap 2
	ds_read_b64 v[20:21], v0
	s_waitcnt lgkmcnt(0)
	buffer_load_dword v0, off, s[0:3], s32 offset:124 ; 4-byte Folded Reload
	s_waitcnt vmcnt(0)
	v_add_co_u32_e32 v42, vcc, v42, v0
	v_addc_co_u32_e32 v43, vcc, 0, v43, vcc
	v_cmp_lt_u64_e32 vcc, v[20:21], v[42:43]
	s_and_saveexec_b64 s[74:75], vcc
	s_cbranch_execz .LBB0_435
; %bb.427:                              ;   in Loop: Header=BB0_73 Depth=2
	s_mov_b32 s26, 0
	s_mov_b64 s[76:77], 0
                                        ; implicit-def: $sgpr78_sgpr79
                                        ; implicit-def: $sgpr88_sgpr89
	s_branch .LBB0_429
.LBB0_428:                              ;   in Loop: Header=BB0_429 Depth=3
	s_or_b64 exec, exec, s[92:93]
	s_and_b64 s[90:91], exec, s[94:95]
	s_or_b64 s[76:77], s[90:91], s[76:77]
	s_andn2_b64 s[78:79], s[78:79], exec
	s_and_b64 s[90:91], s[88:89], exec
	s_or_b64 s[78:79], s[78:79], s[90:91]
	s_andn2_b64 exec, exec, s[76:77]
	s_cbranch_execz .LBB0_433
.LBB0_429:                              ;   Parent Loop BB0_24 Depth=1
                                        ;     Parent Loop BB0_73 Depth=2
                                        ; =>    This Inner Loop Header: Depth=3
	s_add_i32 s26, s26, 1
	s_cmpk_lg_i32 s26, 0x2710
	s_cselect_b64 s[90:91], -1, 0
	s_and_b64 vcc, exec, s[90:91]
	s_cbranch_vccz .LBB0_431
; %bb.430:                              ;   in Loop: Header=BB0_429 Depth=3
	s_mov_b64 s[94:95], -1
	s_or_b64 s[88:89], s[88:89], exec
	s_and_saveexec_b64 s[92:93], s[90:91]
	s_cbranch_execz .LBB0_428
	s_branch .LBB0_432
.LBB0_431:                              ;   in Loop: Header=BB0_429 Depth=3
	s_trap 2
	ds_read_b64 v[20:21], v0
	s_andn2_b64 s[90:91], s[90:91], exec
	s_mov_b32 s26, 0
	s_waitcnt lgkmcnt(0)
	flat_load_dword v0, v[20:21] glc
	s_waitcnt vmcnt(0) lgkmcnt(0)
	buffer_wbinvl1_vol
	v_cmp_eq_u32_e32 vcc, 0, v0
	s_and_b64 s[92:93], vcc, exec
	s_or_b64 s[90:91], s[90:91], s[92:93]
	s_mov_b64 s[94:95], -1
	s_or_b64 s[88:89], s[88:89], exec
	s_and_saveexec_b64 s[92:93], s[90:91]
	s_cbranch_execz .LBB0_428
.LBB0_432:                              ;   in Loop: Header=BB0_429 Depth=3
	s_sleep 1
	s_trap 2
	ds_read_b64 v[20:21], v0
	s_waitcnt lgkmcnt(0)
	s_andn2_b64 s[88:89], s[88:89], exec
	v_cmp_ge_u64_e32 vcc, v[20:21], v[42:43]
	s_orn2_b64 s[94:95], vcc, exec
	s_branch .LBB0_428
.LBB0_433:                              ;   in Loop: Header=BB0_73 Depth=2
	s_or_b64 exec, exec, s[76:77]
	s_and_saveexec_b64 s[76:77], s[78:79]
	s_xor_b64 s[76:77], exec, s[76:77]
	s_cbranch_execz .LBB0_435
; %bb.434:                              ;   in Loop: Header=BB0_73 Depth=2
	v_mov_b32_e32 v0, 1
	ds_write_b32 v0, v0
	s_trap 2
.LBB0_435:                              ;   in Loop: Header=BB0_73 Depth=2
	s_or_b64 exec, exec, s[74:75]
	;;#ASMSTART
	s_wakeup
	;;#ASMEND
.LBB0_436:                              ;   in Loop: Header=BB0_73 Depth=2
	s_or_b64 exec, exec, s[72:73]
.LBB0_437:                              ;   in Loop: Header=BB0_73 Depth=2
	s_andn2_saveexec_b64 s[62:63], s[62:63]
	s_cbranch_execz .LBB0_439
; %bb.438:                              ;   in Loop: Header=BB0_73 Depth=2
	s_waitcnt vmcnt(0) lgkmcnt(0)
	buffer_wbinvl1_vol
	s_barrier
.LBB0_439:                              ;   in Loop: Header=BB0_73 Depth=2
	s_or_b64 exec, exec, s[62:63]
	s_or_b64 exec, exec, s[18:19]
	s_and_saveexec_b64 s[18:19], s[14:15]
	s_cbranch_execnz .LBB0_111
	s_branch .LBB0_112
.LBB0_440:                              ;   in Loop: Header=BB0_24 Depth=1
	v_mov_b32_e32 v22, v56
	v_mov_b32_e32 v23, v57
	s_and_saveexec_b64 s[18:19], s[16:17]
	s_cbranch_execnz .LBB0_442
	s_branch .LBB0_767
.LBB0_441:                              ;   in Loop: Header=BB0_24 Depth=1
	buffer_load_dword v2, off, s[0:3], s32 offset:188 ; 4-byte Folded Reload
	buffer_load_dword v4, off, s[0:3], s32 offset:192 ; 4-byte Folded Reload
	v_mov_b32_e32 v22, v56
	v_mov_b32_e32 v23, v57
	s_and_saveexec_b64 s[18:19], s[16:17]
	s_cbranch_execz .LBB0_767
.LBB0_442:                              ;   in Loop: Header=BB0_24 Depth=1
	buffer_load_dword v10, off, s[0:3], s32 offset:68 ; 4-byte Folded Reload
	buffer_load_dword v11, off, s[0:3], s32 offset:72 ; 4-byte Folded Reload
	s_waitcnt vmcnt(0)
	v_mov_b32_e32 v25, v4
	v_mov_b32_e32 v24, v2
	v_add_u32_e32 v60, 1, v36
	s_mov_b64 s[62:63], 0
	s_waitcnt lgkmcnt(0)
	flat_load_dword v0, v[10:11]
	buffer_load_dword v18, off, s[0:3], s32 offset:196 ; 4-byte Folded Reload
	buffer_load_dword v19, off, s[0:3], s32 offset:200 ; 4-byte Folded Reload
	;; [unrolled: 1-line block ×6, first 2 shown]
	s_waitcnt vmcnt(0) lgkmcnt(0)
	v_ashrrev_i32_e32 v2, 31, v0
	v_mov_b32_e32 v10, v20
	v_mov_b32_e32 v11, v21
	v_add_co_u32_e32 v10, vcc, v10, v24
	v_addc_co_u32_e32 v11, vcc, v11, v25, vcc
	v_mul_lo_u32 v4, v4, v0
	v_mul_lo_u32 v2, v6, v2
	v_mad_u64_u32 v[10:11], s[16:17], v6, v0, v[10:11]
	v_add3_u32 v0, v4, v11, v2
	buffer_load_dword v2, off, s[0:3], s32 offset:144 ; 4-byte Folded Reload
	s_waitcnt vmcnt(0)
	v_add_co_u32_e32 v10, vcc, v10, v2
	buffer_load_dword v2, off, s[0:3], s32 offset:212 ; 4-byte Folded Reload
	s_waitcnt vmcnt(0)
	v_addc_co_u32_e32 v11, vcc, v0, v2, vcc
	buffer_load_dword v0, off, s[0:3], s32 offset:224 ; 4-byte Folded Reload
	s_waitcnt vmcnt(0)
	v_add_co_u32_e32 v56, vcc, v0, v24
	buffer_load_dword v0, off, s[0:3], s32 offset:228 ; 4-byte Folded Reload
	buffer_load_dword v20, off, s[0:3], s32 offset:104 ; 4-byte Folded Reload
	;; [unrolled: 1-line block ×5, first 2 shown]
	s_waitcnt vmcnt(4)
	v_addc_co_u32_e32 v57, vcc, v0, v25, vcc
	v_and_b32_e32 v0, 7, v36
	v_mul_lo_u32 v18, v0, s36
	v_ashrrev_i32_e32 v19, 31, v18
	v_lshlrev_b64 v[18:19], 4, v[18:19]
	s_waitcnt vmcnt(3)
	v_add_co_u32_e32 v28, vcc, v20, v18
	s_waitcnt vmcnt(2)
	v_addc_co_u32_e32 v29, vcc, v21, v19, vcc
	s_branch .LBB0_444
.LBB0_443:                              ;   in Loop: Header=BB0_444 Depth=2
	v_add_co_u32_e32 v10, vcc, v10, v13
	v_addc_co_u32_e32 v11, vcc, 0, v11, vcc
	v_add_co_u32_e32 v56, vcc, v56, v13
	v_addc_co_u32_e32 v57, vcc, 0, v57, vcc
	v_sub_u32_e32 v7, v7, v13
	v_cmp_gt_i32_e32 vcc, 1, v7
	s_or_b64 s[62:63], vcc, s[62:63]
	v_add_u32_e32 v58, v58, v1
	s_andn2_b64 exec, exec, s[62:63]
	s_cbranch_execz .LBB0_766
.LBB0_444:                              ;   Parent Loop BB0_24 Depth=1
                                        ; =>  This Loop Header: Depth=2
                                        ;       Child Loop BB0_452 Depth 3
	v_and_b32_e32 v18, -4, v10
	v_mov_b32_e32 v19, v11
	global_load_dword v0, v[18:19], off glc slc
	v_min_u32_e32 v2, 8, v7
	v_and_b32_e32 v4, 3, v10
	v_add_u32_e32 v2, v4, v2
	v_cmp_lt_u32_e32 vcc, 4, v2
	v_mov_b32_e32 v34, 0
	v_mov_b32_e32 v35, 0
	s_and_saveexec_b64 s[16:17], vcc
	s_cbranch_execz .LBB0_446
; %bb.445:                              ;   in Loop: Header=BB0_444 Depth=2
	global_load_dword v35, v[18:19], off offset:4 glc slc
.LBB0_446:                              ;   in Loop: Header=BB0_444 Depth=2
	s_or_b64 exec, exec, s[16:17]
	v_cmp_lt_u64_e32 vcc, 8, v[2:3]
	s_and_saveexec_b64 s[16:17], vcc
	s_cbranch_execz .LBB0_448
; %bb.447:                              ;   in Loop: Header=BB0_444 Depth=2
	global_load_dword v34, v[18:19], off offset:8 glc slc
.LBB0_448:                              ;   in Loop: Header=BB0_444 Depth=2
	s_or_b64 exec, exec, s[16:17]
	s_waitcnt vmcnt(0)
	v_ashrrev_i32_e32 v59, 31, v58
	v_lshlrev_b64 v[18:19], 4, v[58:59]
	v_add_co_u32_e32 v32, vcc, v28, v18
	v_addc_co_u32_e32 v33, vcc, v29, v19, vcc
	global_load_dwordx4 v[18:21], v[32:33], off glc slc
	v_cmp_eq_u32_e32 vcc, 0, v51
	s_and_saveexec_b64 s[72:73], vcc
	s_cbranch_execz .LBB0_460
; %bb.449:                              ;   in Loop: Header=BB0_444 Depth=2
	s_waitcnt vmcnt(0)
	v_cmp_ne_u32_e32 vcc, v60, v19
	v_cmp_ne_u32_e64 s[16:17], v60, v21
	s_or_b64 s[16:17], vcc, s[16:17]
	v_mov_b32_e32 v51, 0
	s_and_saveexec_b64 s[74:75], s[16:17]
	s_cbranch_execz .LBB0_459
; %bb.450:                              ;   in Loop: Header=BB0_444 Depth=2
	s_mov_b32 s26, 1
	s_mov_b64 s[78:79], 0
                                        ; implicit-def: $sgpr76_sgpr77
                                        ; implicit-def: $sgpr88_sgpr89
	s_branch .LBB0_452
.LBB0_451:                              ;   in Loop: Header=BB0_452 Depth=3
	s_or_b64 exec, exec, s[92:93]
	s_and_b64 s[16:17], exec, s[16:17]
	s_or_b64 s[78:79], s[16:17], s[78:79]
	s_andn2_b64 s[16:17], s[76:77], exec
	s_and_b64 s[76:77], s[88:89], exec
	s_or_b64 s[76:77], s[16:17], s[76:77]
	s_andn2_b64 exec, exec, s[78:79]
	s_cbranch_execz .LBB0_456
.LBB0_452:                              ;   Parent Loop BB0_24 Depth=1
                                        ;     Parent Loop BB0_444 Depth=2
                                        ; =>    This Inner Loop Header: Depth=3
	global_load_dwordx4 v[18:21], v[32:33], off glc slc
	s_add_i32 s26, s26, 1
	s_mov_b64 s[16:17], -1
	s_cmpk_lg_i32 s26, 0x2710
	s_mov_b64 s[90:91], -1
                                        ; implicit-def: $vgpr2
	s_cbranch_scc0 .LBB0_454
; %bb.453:                              ;   in Loop: Header=BB0_452 Depth=3
	s_or_b64 s[88:89], s[88:89], exec
	s_and_saveexec_b64 s[92:93], s[90:91]
	s_cbranch_execz .LBB0_451
	s_branch .LBB0_455
.LBB0_454:                              ;   in Loop: Header=BB0_452 Depth=3
	s_trap 2
	ds_read_b64 v[24:25], v0
	s_mov_b32 s26, 0
	s_waitcnt vmcnt(0) lgkmcnt(0)
	flat_load_dword v2, v[24:25] glc
	s_waitcnt vmcnt(0) lgkmcnt(0)
	buffer_wbinvl1_vol
	v_cmp_eq_u32_e32 vcc, 0, v2
	s_orn2_b64 s[90:91], vcc, exec
	s_or_b64 s[88:89], s[88:89], exec
	s_and_saveexec_b64 s[92:93], s[90:91]
	s_cbranch_execz .LBB0_451
.LBB0_455:                              ;   in Loop: Header=BB0_452 Depth=3
	s_waitcnt vmcnt(0)
	v_cmp_eq_u32_e32 vcc, v60, v19
	v_cmp_eq_u32_e64 s[16:17], v60, v21
	s_and_b64 s[16:17], vcc, s[16:17]
	s_andn2_b64 s[88:89], s[88:89], exec
	s_orn2_b64 s[16:17], s[16:17], exec
	s_branch .LBB0_451
.LBB0_456:                              ;   in Loop: Header=BB0_444 Depth=2
	s_or_b64 exec, exec, s[78:79]
	v_mov_b32_e32 v51, 0
	s_and_saveexec_b64 s[16:17], s[76:77]
	s_xor_b64 s[16:17], exec, s[16:17]
	s_cbranch_execz .LBB0_458
; %bb.457:                              ;   in Loop: Header=BB0_444 Depth=2
	v_mov_b32_e32 v51, 1
	ds_write_b32 v0, v2
	s_trap 2
.LBB0_458:                              ;   in Loop: Header=BB0_444 Depth=2
	s_or_b64 exec, exec, s[16:17]
.LBB0_459:                              ;   in Loop: Header=BB0_444 Depth=2
	s_or_b64 exec, exec, s[74:75]
.LBB0_460:                              ;   in Loop: Header=BB0_444 Depth=2
	s_or_b64 exec, exec, s[72:73]
	s_waitcnt vmcnt(0)
	v_cmp_ne_u16_sdwa s[72:73], v18, v3 src0_sel:BYTE_0 src1_sel:DWORD
	v_mov_b32_e32 v4, 0
	v_mov_b32_e32 v6, 0
	s_and_saveexec_b64 s[16:17], s[72:73]
	s_cbranch_execz .LBB0_468
; %bb.461:                              ;   in Loop: Header=BB0_444 Depth=2
	v_cmp_ne_u16_sdwa s[74:75], sext(v18), s38 src0_sel:BYTE_0 src1_sel:DWORD
	v_bfrev_b32_e32 v6, 1
	s_and_saveexec_b64 s[72:73], s[74:75]
	s_cbranch_execz .LBB0_467
; %bb.462:                              ;   in Loop: Header=BB0_444 Depth=2
	v_and_b32_e32 v6, 0x7c, v18
	v_and_b32_e32 v2, 3, v18
	v_cmp_ne_u32_e32 vcc, s39, v6
                                        ; implicit-def: $vgpr6
	s_and_saveexec_b64 s[74:75], vcc
	s_xor_b64 s[74:75], exec, s[74:75]
	s_cbranch_execz .LBB0_464
; %bb.463:                              ;   in Loop: Header=BB0_444 Depth=2
	v_ffbh_u32_e32 v24, v2
	v_min_u32_e32 v26, 32, v24
	v_bfe_u32 v6, v18, 2, 5
	v_subrev_u32_e32 v24, 29, v26
	v_lshlrev_b64 v[24:25], v24, v[18:19]
	v_sub_u32_e32 v19, 30, v26
	v_cmp_eq_u32_e32 vcc, 0, v6
	v_cndmask_b32_e32 v6, v6, v19, vcc
	v_lshlrev_b32_e32 v19, 24, v18
	v_and_b32_e32 v24, 3, v24
	v_and_b32_e32 v19, 0x80000000, v19
	v_cndmask_b32_e32 v2, v2, v24, vcc
	v_lshl_add_u32 v6, v6, 23, v19
	v_lshl_or_b32 v2, v2, 21, v6
	v_add_u32_e32 v6, 0x38000000, v2
                                        ; implicit-def: $vgpr2
.LBB0_464:                              ;   in Loop: Header=BB0_444 Depth=2
	s_andn2_saveexec_b64 s[74:75], s[74:75]
; %bb.465:                              ;   in Loop: Header=BB0_444 Depth=2
	v_cmp_gt_i16_sdwa vcc, sext(v18), v27 src0_sel:BYTE_0 src1_sel:DWORD
	v_cndmask_b32_e32 v6, v5, v8, vcc
	v_cmp_eq_u32_e32 vcc, 0, v2
	v_cndmask_b32_e32 v6, v9, v6, vcc
; %bb.466:                              ;   in Loop: Header=BB0_444 Depth=2
	s_or_b64 exec, exec, s[74:75]
.LBB0_467:                              ;   in Loop: Header=BB0_444 Depth=2
	s_or_b64 exec, exec, s[72:73]
.LBB0_468:                              ;   in Loop: Header=BB0_444 Depth=2
	s_or_b64 exec, exec, s[16:17]
	v_lshlrev_b32_e32 v33, 3, v10
	v_alignbit_b32 v2, v35, v0, v33
	v_cmp_ne_u16_sdwa s[72:73], v2, v3 src0_sel:BYTE_0 src1_sel:DWORD
	s_and_saveexec_b64 s[16:17], s[72:73]
	s_cbranch_execz .LBB0_476
; %bb.469:                              ;   in Loop: Header=BB0_444 Depth=2
	v_cmp_ne_u16_sdwa s[74:75], sext(v2), s38 src0_sel:BYTE_0 src1_sel:DWORD
	v_bfrev_b32_e32 v4, 1
	s_and_saveexec_b64 s[72:73], s[74:75]
	s_cbranch_execz .LBB0_475
; %bb.470:                              ;   in Loop: Header=BB0_444 Depth=2
	v_and_b32_e32 v4, 0x7c, v2
	v_and_b32_e32 v0, 3, v2
	v_cmp_ne_u32_e32 vcc, s39, v4
                                        ; implicit-def: $vgpr4
	s_and_saveexec_b64 s[74:75], vcc
	s_xor_b64 s[74:75], exec, s[74:75]
	s_cbranch_execz .LBB0_472
; %bb.471:                              ;   in Loop: Header=BB0_444 Depth=2
	v_ffbh_u32_e32 v19, v0
	v_min_u32_e32 v19, 32, v19
	v_bfe_u32 v4, v2, 2, 5
	v_subrev_u32_e32 v24, 29, v19
	v_lshlrev_b64 v[24:25], v24, v[2:3]
	v_sub_u32_e32 v19, 30, v19
	v_cmp_eq_u32_e32 vcc, 0, v4
	v_cndmask_b32_e32 v4, v4, v19, vcc
	v_lshlrev_b32_e32 v19, 24, v2
	v_and_b32_e32 v24, 3, v24
	v_and_b32_e32 v19, 0x80000000, v19
	v_cndmask_b32_e32 v0, v0, v24, vcc
	v_lshl_add_u32 v4, v4, 23, v19
	v_lshl_or_b32 v0, v0, 21, v4
	v_add_u32_e32 v4, 0x38000000, v0
                                        ; implicit-def: $vgpr0
.LBB0_472:                              ;   in Loop: Header=BB0_444 Depth=2
	s_andn2_saveexec_b64 s[74:75], s[74:75]
; %bb.473:                              ;   in Loop: Header=BB0_444 Depth=2
	v_cmp_gt_i16_sdwa vcc, sext(v2), v27 src0_sel:BYTE_0 src1_sel:DWORD
	v_cndmask_b32_e32 v4, v5, v8, vcc
	v_cmp_eq_u32_e32 vcc, 0, v0
	v_cndmask_b32_e32 v4, v9, v4, vcc
; %bb.474:                              ;   in Loop: Header=BB0_444 Depth=2
	s_or_b64 exec, exec, s[74:75]
.LBB0_475:                              ;   in Loop: Header=BB0_444 Depth=2
	s_or_b64 exec, exec, s[72:73]
.LBB0_476:                              ;   in Loop: Header=BB0_444 Depth=2
	s_or_b64 exec, exec, s[16:17]
	v_mul_f32_e32 v4, v6, v4
	v_and_b32_e32 v24, 0x7f800000, v4
	v_mov_b32_e32 v25, v3
	v_cmp_ne_u64_e32 vcc, s[56:57], v[24:25]
	v_and_b32_e32 v30, 0x7fffff, v4
	v_mov_b32_e32 v31, v3
                                        ; implicit-def: $vgpr26
	s_and_saveexec_b64 s[16:17], vcc
	s_xor_b64 s[72:73], exec, s[16:17]
	s_cbranch_execz .LBB0_490
; %bb.477:                              ;   in Loop: Header=BB0_444 Depth=2
	v_and_b32_e32 v24, 0x7fffffff, v4
	v_mov_b32_e32 v25, v3
	v_cmp_gt_u64_e32 vcc, s[58:59], v[24:25]
	v_and_b32_sdwa v0, v4, s48 dst_sel:DWORD dst_unused:UNUSED_PAD src0_sel:BYTE_3 src1_sel:DWORD
                                        ; implicit-def: $vgpr26
	s_and_saveexec_b64 s[16:17], vcc
	s_xor_b64 s[74:75], exec, s[16:17]
	s_cbranch_execz .LBB0_487
; %bb.478:                              ;   in Loop: Header=BB0_444 Depth=2
	v_mov_b32_e32 v26, 0
	v_cmp_ne_u32_e32 vcc, 0, v4
	s_and_saveexec_b64 s[76:77], vcc
	s_cbranch_execz .LBB0_486
; %bb.479:                              ;   in Loop: Header=BB0_444 Depth=2
	v_bfe_u32 v4, v4, 23, 8
	v_cmp_gt_u32_e64 s[16:17], s49, v4
	v_sub_u32_e32 v6, 0x71, v4
	v_cmp_eq_u32_e32 vcc, 0, v4
	v_cndmask_b32_e64 v6, 0, v6, s[16:17]
	v_or_b32_e32 v19, 0x800000, v30
	v_cndmask_b32_e32 v6, v6, v40, vcc
	v_cndmask_b32_e32 v30, v19, v30, vcc
	v_add_u32_e32 v19, 21, v6
	v_lshlrev_b64 v[24:25], v19, -1
	v_add_u32_e32 v19, 20, v6
	v_bfi_b32 v24, v24, 0, v30
	v_lshlrev_b64 v[46:47], v19, 1
	v_lshrrev_b64 v[30:31], v6, v[30:31]
	v_bfi_b32 v25, v25, 0, 0
	v_cmp_eq_u64_e64 s[16:17], v[24:25], v[46:47]
	v_mov_b32_e32 v32, v31
	v_mov_b32_e32 v31, v30
	s_and_saveexec_b64 s[78:79], s[16:17]
; %bb.480:                              ;   in Loop: Header=BB0_444 Depth=2
	v_bfe_u32 v19, v30, 21, 1
	v_add_co_u32_e64 v19, s[16:17], v30, v19
	v_add_co_u32_e64 v31, s[16:17], -1, v19
; %bb.481:                              ;   in Loop: Header=BB0_444 Depth=2
	s_or_b64 exec, exec, s[78:79]
	v_add_u32_e32 v4, 0xffffff81, v4
	v_cndmask_b32_e32 v4, v4, v41, vcc
	v_lshrrev_b32_e32 v19, 23, v30
	v_add3_u32 v19, v6, v4, v19
	v_add_u32_e32 v6, 14, v19
	v_and_b32_e32 v4, 0x1fffff, v31
	v_add_u32_e32 v30, v4, v30
	v_mov_b32_e32 v31, v3
	v_cmp_ne_u32_e32 vcc, 0, v6
                                        ; implicit-def: $vgpr4
	s_and_saveexec_b64 s[16:17], vcc
	s_xor_b64 s[16:17], exec, s[16:17]
; %bb.482:                              ;   in Loop: Header=BB0_444 Depth=2
	v_cmp_lt_u64_e32 vcc, s[60:61], v[30:31]
	v_add_u32_e32 v4, 15, v19
	v_cndmask_b32_e32 v4, v6, v4, vcc
	v_cndmask_b32_e64 v6, 0, 1, vcc
	v_lshrrev_b64 v[30:31], v6, v[30:31]
; %bb.483:                              ;   in Loop: Header=BB0_444 Depth=2
	s_andn2_saveexec_b64 s[16:17], s[16:17]
; %bb.484:                              ;   in Loop: Header=BB0_444 Depth=2
	v_bfe_u32 v4, v30, 23, 1
; %bb.485:                              ;   in Loop: Header=BB0_444 Depth=2
	s_or_b64 exec, exec, s[16:17]
	v_lshrrev_b64 v[24:25], 21, v[30:31]
	v_cmp_gt_i32_e32 vcc, 32, v4
	v_cndmask_b32_e32 v25, 0, v25, vcc
	v_cndmask_b32_e32 v24, 3, v24, vcc
	v_cmp_eq_u32_e32 vcc, 0, v4
	v_min_i32_e32 v4, 31, v4
	v_cmp_eq_u64_e64 s[16:17], 0, v[24:25]
	v_lshlrev_b32_e32 v4, 2, v4
	v_and_b32_e32 v4, 0xfc, v4
	v_and_or_b32 v4, v24, 3, v4
	s_and_b64 s[16:17], vcc, s[16:17]
	v_cndmask_b32_e64 v4, v4, 0, s[16:17]
	v_or_b32_e32 v26, v4, v0
.LBB0_486:                              ;   in Loop: Header=BB0_444 Depth=2
	s_or_b64 exec, exec, s[76:77]
                                        ; implicit-def: $vgpr0
.LBB0_487:                              ;   in Loop: Header=BB0_444 Depth=2
	s_andn2_saveexec_b64 s[16:17], s[74:75]
; %bb.488:                              ;   in Loop: Header=BB0_444 Depth=2
	v_or_b32_e32 v26, 0x7b, v0
; %bb.489:                              ;   in Loop: Header=BB0_444 Depth=2
	s_or_b64 exec, exec, s[16:17]
                                        ; implicit-def: $vgpr4
                                        ; implicit-def: $vgpr30_vgpr31
.LBB0_490:                              ;   in Loop: Header=BB0_444 Depth=2
	s_andn2_saveexec_b64 s[16:17], s[72:73]
	s_cbranch_execz .LBB0_496
; %bb.491:                              ;   in Loop: Header=BB0_444 Depth=2
	v_cmp_ne_u64_e32 vcc, 0, v[30:31]
                                        ; implicit-def: $vgpr26
	s_and_saveexec_b64 s[72:73], vcc
	s_xor_b64 s[72:73], exec, s[72:73]
; %bb.492:                              ;   in Loop: Header=BB0_444 Depth=2
	v_or_b32_sdwa v26, v4, s50 dst_sel:DWORD dst_unused:UNUSED_PAD src0_sel:BYTE_3 src1_sel:DWORD
                                        ; implicit-def: $vgpr4
; %bb.493:                              ;   in Loop: Header=BB0_444 Depth=2
	s_andn2_saveexec_b64 s[72:73], s[72:73]
; %bb.494:                              ;   in Loop: Header=BB0_444 Depth=2
	v_cmp_lt_i32_e32 vcc, -1, v4
	v_cndmask_b32_e32 v26, v12, v50, vcc
; %bb.495:                              ;   in Loop: Header=BB0_444 Depth=2
	s_or_b64 exec, exec, s[72:73]
.LBB0_496:                              ;   in Loop: Header=BB0_444 Depth=2
	s_or_b64 exec, exec, s[16:17]
	v_lshrrev_b16_e32 v30, 8, v18
	v_cmp_ne_u16_e32 vcc, 0, v30
	v_mov_b32_e32 v0, 0
	v_mov_b32_e32 v4, 0
	s_and_saveexec_b64 s[16:17], vcc
	s_cbranch_execz .LBB0_504
; %bb.497:                              ;   in Loop: Header=BB0_444 Depth=2
	v_cmp_ne_u16_e32 vcc, s48, v30
	v_bfrev_b32_e32 v4, 1
	s_and_saveexec_b64 s[72:73], vcc
	s_cbranch_execz .LBB0_503
; %bb.498:                              ;   in Loop: Header=BB0_444 Depth=2
	v_and_b32_e32 v4, 0x7c, v30
	v_and_b32_e32 v6, 3, v30
	v_cmp_ne_u32_e32 vcc, s39, v4
                                        ; implicit-def: $vgpr4
	s_and_saveexec_b64 s[74:75], vcc
	s_xor_b64 s[74:75], exec, s[74:75]
	s_cbranch_execz .LBB0_500
; %bb.499:                              ;   in Loop: Header=BB0_444 Depth=2
	v_ffbh_u32_e32 v19, v6
	v_min_u32_e32 v19, 32, v19
	v_mov_b32_e32 v31, v3
	v_bfe_u32 v4, v30, 2, 5
	v_subrev_u32_e32 v24, 29, v19
	v_lshlrev_b64 v[24:25], v24, v[30:31]
	v_sub_u32_e32 v19, 30, v19
	v_cmp_eq_u32_e32 vcc, 0, v4
	v_cndmask_b32_e32 v4, v4, v19, vcc
	v_lshlrev_b32_e32 v19, 16, v18
	v_and_b32_e32 v24, 3, v24
	v_and_b32_e32 v19, 0x80000000, v19
	v_cndmask_b32_e32 v6, v6, v24, vcc
	v_lshl_add_u32 v4, v4, 23, v19
	v_lshl_or_b32 v4, v6, 21, v4
	v_add_u32_e32 v4, 0x38000000, v4
                                        ; implicit-def: $vgpr6
.LBB0_500:                              ;   in Loop: Header=BB0_444 Depth=2
	s_andn2_saveexec_b64 s[74:75], s[74:75]
; %bb.501:                              ;   in Loop: Header=BB0_444 Depth=2
	v_cmp_lt_i16_e32 vcc, -1, v18
	v_cndmask_b32_e32 v4, v5, v8, vcc
	v_cmp_eq_u32_e32 vcc, 0, v6
	v_cndmask_b32_e32 v4, v9, v4, vcc
; %bb.502:                              ;   in Loop: Header=BB0_444 Depth=2
	s_or_b64 exec, exec, s[74:75]
.LBB0_503:                              ;   in Loop: Header=BB0_444 Depth=2
	s_or_b64 exec, exec, s[72:73]
.LBB0_504:                              ;   in Loop: Header=BB0_444 Depth=2
	s_or_b64 exec, exec, s[16:17]
	v_lshrrev_b16_e32 v30, 8, v2
	v_cmp_ne_u16_e32 vcc, 0, v30
	s_and_saveexec_b64 s[16:17], vcc
	s_cbranch_execz .LBB0_512
; %bb.505:                              ;   in Loop: Header=BB0_444 Depth=2
	v_cmp_ne_u16_e32 vcc, s48, v30
	v_bfrev_b32_e32 v0, 1
	s_and_saveexec_b64 s[72:73], vcc
	s_cbranch_execz .LBB0_511
; %bb.506:                              ;   in Loop: Header=BB0_444 Depth=2
	v_and_b32_e32 v0, 0x7c, v30
	v_and_b32_e32 v6, 3, v30
	v_cmp_ne_u32_e32 vcc, s39, v0
                                        ; implicit-def: $vgpr0
	s_and_saveexec_b64 s[74:75], vcc
	s_xor_b64 s[74:75], exec, s[74:75]
	s_cbranch_execz .LBB0_508
; %bb.507:                              ;   in Loop: Header=BB0_444 Depth=2
	v_ffbh_u32_e32 v19, v6
	v_min_u32_e32 v19, 32, v19
	v_mov_b32_e32 v31, v3
	v_bfe_u32 v0, v30, 2, 5
	v_subrev_u32_e32 v24, 29, v19
	v_lshlrev_b64 v[24:25], v24, v[30:31]
	v_sub_u32_e32 v19, 30, v19
	v_cmp_eq_u32_e32 vcc, 0, v0
	v_cndmask_b32_e32 v0, v0, v19, vcc
	v_lshlrev_b32_e32 v19, 16, v2
	v_and_b32_e32 v24, 3, v24
	v_and_b32_e32 v19, 0x80000000, v19
	v_cndmask_b32_e32 v6, v6, v24, vcc
	v_lshl_add_u32 v0, v0, 23, v19
	v_lshl_or_b32 v0, v6, 21, v0
	v_add_u32_e32 v0, 0x38000000, v0
                                        ; implicit-def: $vgpr6
.LBB0_508:                              ;   in Loop: Header=BB0_444 Depth=2
	s_andn2_saveexec_b64 s[74:75], s[74:75]
; %bb.509:                              ;   in Loop: Header=BB0_444 Depth=2
	v_cmp_lt_i16_e32 vcc, -1, v2
	v_cndmask_b32_e32 v0, v5, v8, vcc
	v_cmp_eq_u32_e32 vcc, 0, v6
	v_cndmask_b32_e32 v0, v9, v0, vcc
; %bb.510:                              ;   in Loop: Header=BB0_444 Depth=2
	s_or_b64 exec, exec, s[74:75]
.LBB0_511:                              ;   in Loop: Header=BB0_444 Depth=2
	s_or_b64 exec, exec, s[72:73]
.LBB0_512:                              ;   in Loop: Header=BB0_444 Depth=2
	s_or_b64 exec, exec, s[16:17]
	v_mul_f32_e32 v4, v4, v0
	v_and_b32_e32 v24, 0x7f800000, v4
	v_mov_b32_e32 v25, v3
	v_cmp_ne_u64_e32 vcc, s[56:57], v[24:25]
	v_and_b32_e32 v30, 0x7fffff, v4
	v_mov_b32_e32 v31, v3
                                        ; implicit-def: $vgpr6
	s_and_saveexec_b64 s[16:17], vcc
	s_xor_b64 s[72:73], exec, s[16:17]
	s_cbranch_execz .LBB0_526
; %bb.513:                              ;   in Loop: Header=BB0_444 Depth=2
	v_and_b32_e32 v24, 0x7fffffff, v4
	v_mov_b32_e32 v25, v3
	v_cmp_gt_u64_e32 vcc, s[58:59], v[24:25]
	v_and_b32_sdwa v0, v4, s48 dst_sel:DWORD dst_unused:UNUSED_PAD src0_sel:BYTE_3 src1_sel:DWORD
                                        ; implicit-def: $vgpr6
	s_and_saveexec_b64 s[16:17], vcc
	s_xor_b64 s[74:75], exec, s[16:17]
	s_cbranch_execz .LBB0_523
; %bb.514:                              ;   in Loop: Header=BB0_444 Depth=2
	v_mov_b32_e32 v6, 0
	v_cmp_ne_u32_e32 vcc, 0, v4
	s_and_saveexec_b64 s[76:77], vcc
	s_cbranch_execz .LBB0_522
; %bb.515:                              ;   in Loop: Header=BB0_444 Depth=2
	v_bfe_u32 v4, v4, 23, 8
	v_cmp_gt_u32_e64 s[16:17], s49, v4
	v_sub_u32_e32 v6, 0x71, v4
	v_cmp_eq_u32_e32 vcc, 0, v4
	v_cndmask_b32_e64 v6, 0, v6, s[16:17]
	v_or_b32_e32 v19, 0x800000, v30
	v_cndmask_b32_e32 v6, v6, v40, vcc
	v_cndmask_b32_e32 v30, v19, v30, vcc
	v_add_u32_e32 v19, 21, v6
	v_lshlrev_b64 v[24:25], v19, -1
	v_add_u32_e32 v19, 20, v6
	v_bfi_b32 v24, v24, 0, v30
	v_lshlrev_b64 v[46:47], v19, 1
	v_lshrrev_b64 v[30:31], v6, v[30:31]
	v_bfi_b32 v25, v25, 0, 0
	v_cmp_eq_u64_e64 s[16:17], v[24:25], v[46:47]
	v_mov_b32_e32 v32, v31
	v_mov_b32_e32 v31, v30
	s_and_saveexec_b64 s[78:79], s[16:17]
; %bb.516:                              ;   in Loop: Header=BB0_444 Depth=2
	v_bfe_u32 v19, v30, 21, 1
	v_add_co_u32_e64 v19, s[16:17], v30, v19
	v_add_co_u32_e64 v31, s[16:17], -1, v19
; %bb.517:                              ;   in Loop: Header=BB0_444 Depth=2
	s_or_b64 exec, exec, s[78:79]
	v_add_u32_e32 v4, 0xffffff81, v4
	v_cndmask_b32_e32 v4, v4, v41, vcc
	v_lshrrev_b32_e32 v19, 23, v30
	v_add3_u32 v19, v6, v4, v19
	v_add_u32_e32 v6, 14, v19
	v_and_b32_e32 v4, 0x1fffff, v31
	v_add_u32_e32 v30, v4, v30
	v_mov_b32_e32 v31, v3
	v_cmp_ne_u32_e32 vcc, 0, v6
                                        ; implicit-def: $vgpr4
	s_and_saveexec_b64 s[16:17], vcc
	s_xor_b64 s[16:17], exec, s[16:17]
; %bb.518:                              ;   in Loop: Header=BB0_444 Depth=2
	v_cmp_lt_u64_e32 vcc, s[60:61], v[30:31]
	v_add_u32_e32 v4, 15, v19
	v_cndmask_b32_e32 v4, v6, v4, vcc
	v_cndmask_b32_e64 v6, 0, 1, vcc
	v_lshrrev_b64 v[30:31], v6, v[30:31]
; %bb.519:                              ;   in Loop: Header=BB0_444 Depth=2
	s_andn2_saveexec_b64 s[16:17], s[16:17]
; %bb.520:                              ;   in Loop: Header=BB0_444 Depth=2
	v_bfe_u32 v4, v30, 23, 1
; %bb.521:                              ;   in Loop: Header=BB0_444 Depth=2
	s_or_b64 exec, exec, s[16:17]
	v_lshrrev_b64 v[24:25], 21, v[30:31]
	v_cmp_gt_i32_e32 vcc, 32, v4
	v_cndmask_b32_e32 v25, 0, v25, vcc
	v_cndmask_b32_e32 v24, 3, v24, vcc
	v_cmp_eq_u32_e32 vcc, 0, v4
	v_min_i32_e32 v4, 31, v4
	v_cmp_eq_u64_e64 s[16:17], 0, v[24:25]
	v_lshlrev_b32_e32 v4, 2, v4
	v_and_b32_e32 v4, 0xfc, v4
	v_and_or_b32 v4, v24, 3, v4
	s_and_b64 s[16:17], vcc, s[16:17]
	v_cndmask_b32_e64 v4, v4, 0, s[16:17]
	v_or_b32_e32 v6, v4, v0
.LBB0_522:                              ;   in Loop: Header=BB0_444 Depth=2
	s_or_b64 exec, exec, s[76:77]
                                        ; implicit-def: $vgpr0
.LBB0_523:                              ;   in Loop: Header=BB0_444 Depth=2
	s_andn2_saveexec_b64 s[16:17], s[74:75]
; %bb.524:                              ;   in Loop: Header=BB0_444 Depth=2
	v_or_b32_e32 v6, 0x7b, v0
; %bb.525:                              ;   in Loop: Header=BB0_444 Depth=2
	s_or_b64 exec, exec, s[16:17]
                                        ; implicit-def: $vgpr4
                                        ; implicit-def: $vgpr30_vgpr31
.LBB0_526:                              ;   in Loop: Header=BB0_444 Depth=2
	s_andn2_saveexec_b64 s[16:17], s[72:73]
	s_cbranch_execz .LBB0_532
; %bb.527:                              ;   in Loop: Header=BB0_444 Depth=2
	v_cmp_ne_u64_e32 vcc, 0, v[30:31]
                                        ; implicit-def: $vgpr6
	s_and_saveexec_b64 s[72:73], vcc
	s_xor_b64 s[72:73], exec, s[72:73]
; %bb.528:                              ;   in Loop: Header=BB0_444 Depth=2
	v_or_b32_sdwa v6, v4, s50 dst_sel:DWORD dst_unused:UNUSED_PAD src0_sel:BYTE_3 src1_sel:DWORD
                                        ; implicit-def: $vgpr4
; %bb.529:                              ;   in Loop: Header=BB0_444 Depth=2
	s_andn2_saveexec_b64 s[72:73], s[72:73]
; %bb.530:                              ;   in Loop: Header=BB0_444 Depth=2
	v_cmp_lt_i32_e32 vcc, -1, v4
	v_cndmask_b32_e32 v6, v12, v50, vcc
; %bb.531:                              ;   in Loop: Header=BB0_444 Depth=2
	s_or_b64 exec, exec, s[72:73]
.LBB0_532:                              ;   in Loop: Header=BB0_444 Depth=2
	s_or_b64 exec, exec, s[16:17]
	v_lshrrev_b32_e32 v0, 16, v18
	v_cmp_ne_u16_sdwa s[72:73], v0, v3 src0_sel:BYTE_0 src1_sel:DWORD
	v_mov_b32_e32 v19, 0
	v_mov_b32_e32 v4, 0
	s_and_saveexec_b64 s[16:17], s[72:73]
	s_cbranch_execz .LBB0_540
; %bb.533:                              ;   in Loop: Header=BB0_444 Depth=2
	v_cmp_ne_u16_sdwa s[74:75], v0, s48 src0_sel:BYTE_0 src1_sel:DWORD
	v_bfrev_b32_e32 v4, 1
	s_and_saveexec_b64 s[72:73], s[74:75]
	s_cbranch_execz .LBB0_539
; %bb.534:                              ;   in Loop: Header=BB0_444 Depth=2
	v_and_b32_e32 v4, 0x7c0000, v18
	v_bfe_u32 v24, v18, 16, 2
	v_cmp_ne_u32_e32 vcc, s51, v4
                                        ; implicit-def: $vgpr4
	s_and_saveexec_b64 s[74:75], vcc
	s_xor_b64 s[74:75], exec, s[74:75]
	s_cbranch_execz .LBB0_536
; %bb.535:                              ;   in Loop: Header=BB0_444 Depth=2
	v_ffbh_u32_e32 v25, v24
	v_min_u32_e32 v25, 32, v25
	v_subrev_u32_e32 v30, 29, v25
	v_lshlrev_b64 v[30:31], v30, v[0:1]
	v_bfe_u32 v4, v18, 18, 5
	v_sub_u32_e32 v0, 30, v25
	v_and_b32_e32 v25, 3, v30
	v_cmp_eq_u32_e32 vcc, 0, v4
	v_cndmask_b32_e32 v0, v4, v0, vcc
	v_cndmask_b32_e32 v4, v24, v25, vcc
	v_lshlrev_b32_e32 v24, 8, v18
	v_and_b32_e32 v24, 0x80000000, v24
	v_lshl_add_u32 v0, v0, 23, v24
	v_lshl_or_b32 v0, v4, 21, v0
	v_add_u32_e32 v4, 0x38000000, v0
                                        ; implicit-def: $vgpr24
                                        ; implicit-def: $vgpr0
.LBB0_536:                              ;   in Loop: Header=BB0_444 Depth=2
	s_andn2_saveexec_b64 s[74:75], s[74:75]
; %bb.537:                              ;   in Loop: Header=BB0_444 Depth=2
	v_cmp_gt_i16_sdwa vcc, sext(v0), v27 src0_sel:BYTE_0 src1_sel:DWORD
	v_cndmask_b32_e32 v0, v5, v8, vcc
	v_cmp_eq_u32_e32 vcc, 0, v24
	v_cndmask_b32_e32 v4, v9, v0, vcc
; %bb.538:                              ;   in Loop: Header=BB0_444 Depth=2
	s_or_b64 exec, exec, s[74:75]
.LBB0_539:                              ;   in Loop: Header=BB0_444 Depth=2
	s_or_b64 exec, exec, s[72:73]
.LBB0_540:                              ;   in Loop: Header=BB0_444 Depth=2
	s_or_b64 exec, exec, s[16:17]
	v_and_b32_sdwa v24, v2, s37 dst_sel:DWORD dst_unused:UNUSED_PAD src0_sel:WORD_1 src1_sel:DWORD
	v_lshrrev_b32_e32 v0, 16, v2
	v_cmp_ne_u16_e32 vcc, 0, v24
	s_and_saveexec_b64 s[16:17], vcc
	s_cbranch_execz .LBB0_548
; %bb.541:                              ;   in Loop: Header=BB0_444 Depth=2
	v_cmp_ne_u16_e32 vcc, s48, v24
	v_bfrev_b32_e32 v19, 1
	s_and_saveexec_b64 s[72:73], vcc
	s_cbranch_execz .LBB0_547
; %bb.542:                              ;   in Loop: Header=BB0_444 Depth=2
	v_and_b32_e32 v19, 0x7c0000, v2
	v_bfe_u32 v24, v2, 16, 2
	v_cmp_ne_u32_e32 vcc, s51, v19
                                        ; implicit-def: $vgpr19
	s_and_saveexec_b64 s[74:75], vcc
	s_xor_b64 s[74:75], exec, s[74:75]
	s_cbranch_execz .LBB0_544
; %bb.543:                              ;   in Loop: Header=BB0_444 Depth=2
	v_ffbh_u32_e32 v25, v24
	v_min_u32_e32 v25, 32, v25
	v_lshrrev_b32_e32 v0, 16, v2
	v_subrev_u32_e32 v30, 29, v25
	v_lshlrev_b64 v[30:31], v30, v[0:1]
	v_bfe_u32 v19, v2, 18, 5
	v_sub_u32_e32 v0, 30, v25
	v_and_b32_e32 v25, 3, v30
	v_cmp_eq_u32_e32 vcc, 0, v19
	v_cndmask_b32_e32 v0, v19, v0, vcc
	v_cndmask_b32_e32 v19, v24, v25, vcc
	v_lshlrev_b32_e32 v24, 8, v2
	v_and_b32_e32 v24, 0x80000000, v24
	v_lshl_add_u32 v0, v0, 23, v24
	v_lshl_or_b32 v0, v19, 21, v0
	v_add_u32_e32 v19, 0x38000000, v0
                                        ; implicit-def: $vgpr24
                                        ; implicit-def: $vgpr0
.LBB0_544:                              ;   in Loop: Header=BB0_444 Depth=2
	s_andn2_saveexec_b64 s[74:75], s[74:75]
; %bb.545:                              ;   in Loop: Header=BB0_444 Depth=2
	v_cmp_gt_i16_sdwa vcc, sext(v0), v27 src0_sel:BYTE_0 src1_sel:DWORD
	v_cndmask_b32_e32 v0, v5, v8, vcc
	v_cmp_eq_u32_e32 vcc, 0, v24
	v_cndmask_b32_e32 v19, v9, v0, vcc
; %bb.546:                              ;   in Loop: Header=BB0_444 Depth=2
	s_or_b64 exec, exec, s[74:75]
.LBB0_547:                              ;   in Loop: Header=BB0_444 Depth=2
	s_or_b64 exec, exec, s[72:73]
.LBB0_548:                              ;   in Loop: Header=BB0_444 Depth=2
	s_or_b64 exec, exec, s[16:17]
	v_mul_f32_e32 v4, v4, v19
	v_and_b32_e32 v24, 0x7f800000, v4
	v_mov_b32_e32 v25, v3
	v_cmp_ne_u64_e32 vcc, s[56:57], v[24:25]
	v_and_b32_e32 v30, 0x7fffff, v4
	v_mov_b32_e32 v31, v3
                                        ; implicit-def: $vgpr32
	s_and_saveexec_b64 s[16:17], vcc
	s_xor_b64 s[72:73], exec, s[16:17]
	s_cbranch_execz .LBB0_562
; %bb.549:                              ;   in Loop: Header=BB0_444 Depth=2
	v_and_b32_e32 v24, 0x7fffffff, v4
	v_mov_b32_e32 v25, v3
	v_cmp_gt_u64_e32 vcc, s[58:59], v[24:25]
	v_and_b32_sdwa v0, v4, s48 dst_sel:DWORD dst_unused:UNUSED_PAD src0_sel:BYTE_3 src1_sel:DWORD
                                        ; implicit-def: $vgpr32
	s_and_saveexec_b64 s[16:17], vcc
	s_xor_b64 s[74:75], exec, s[16:17]
	s_cbranch_execz .LBB0_559
; %bb.550:                              ;   in Loop: Header=BB0_444 Depth=2
	v_mov_b32_e32 v32, 0
	v_cmp_ne_u32_e32 vcc, 0, v4
	s_and_saveexec_b64 s[76:77], vcc
	s_cbranch_execz .LBB0_558
; %bb.551:                              ;   in Loop: Header=BB0_444 Depth=2
	v_bfe_u32 v4, v4, 23, 8
	v_cmp_gt_u32_e64 s[16:17], s49, v4
	v_sub_u32_e32 v19, 0x71, v4
	v_cmp_eq_u32_e32 vcc, 0, v4
	v_cndmask_b32_e64 v19, 0, v19, s[16:17]
	v_or_b32_e32 v24, 0x800000, v30
	v_cndmask_b32_e32 v19, v19, v40, vcc
	v_cndmask_b32_e32 v30, v24, v30, vcc
	v_add_u32_e32 v24, 21, v19
	v_lshlrev_b64 v[24:25], v24, -1
	v_add_u32_e32 v32, 20, v19
	v_bfi_b32 v24, v24, 0, v30
	v_lshlrev_b64 v[46:47], v32, 1
	v_lshrrev_b64 v[30:31], v19, v[30:31]
	v_bfi_b32 v25, v25, 0, 0
	v_cmp_eq_u64_e64 s[16:17], v[24:25], v[46:47]
	v_mov_b32_e32 v32, v31
	v_mov_b32_e32 v31, v30
	s_and_saveexec_b64 s[78:79], s[16:17]
; %bb.552:                              ;   in Loop: Header=BB0_444 Depth=2
	v_bfe_u32 v24, v30, 21, 1
	v_add_co_u32_e64 v24, s[16:17], v30, v24
	v_add_co_u32_e64 v31, s[16:17], -1, v24
; %bb.553:                              ;   in Loop: Header=BB0_444 Depth=2
	s_or_b64 exec, exec, s[78:79]
	v_add_u32_e32 v4, 0xffffff81, v4
	v_cndmask_b32_e32 v4, v4, v41, vcc
	v_lshrrev_b32_e32 v24, 23, v30
	v_add3_u32 v24, v19, v4, v24
	v_add_u32_e32 v19, 14, v24
	v_and_b32_e32 v4, 0x1fffff, v31
	v_add_u32_e32 v30, v4, v30
	v_mov_b32_e32 v31, v3
	v_cmp_ne_u32_e32 vcc, 0, v19
                                        ; implicit-def: $vgpr4
	s_and_saveexec_b64 s[16:17], vcc
	s_xor_b64 s[16:17], exec, s[16:17]
; %bb.554:                              ;   in Loop: Header=BB0_444 Depth=2
	v_cmp_lt_u64_e32 vcc, s[60:61], v[30:31]
	v_add_u32_e32 v4, 15, v24
	v_cndmask_b32_e32 v4, v19, v4, vcc
	v_cndmask_b32_e64 v19, 0, 1, vcc
	v_lshrrev_b64 v[30:31], v19, v[30:31]
; %bb.555:                              ;   in Loop: Header=BB0_444 Depth=2
	s_andn2_saveexec_b64 s[16:17], s[16:17]
; %bb.556:                              ;   in Loop: Header=BB0_444 Depth=2
	v_bfe_u32 v4, v30, 23, 1
; %bb.557:                              ;   in Loop: Header=BB0_444 Depth=2
	s_or_b64 exec, exec, s[16:17]
	v_lshrrev_b64 v[24:25], 21, v[30:31]
	v_cmp_gt_i32_e32 vcc, 32, v4
	v_cndmask_b32_e32 v25, 0, v25, vcc
	v_cndmask_b32_e32 v24, 3, v24, vcc
	v_cmp_eq_u32_e32 vcc, 0, v4
	v_min_i32_e32 v4, 31, v4
	v_cmp_eq_u64_e64 s[16:17], 0, v[24:25]
	v_lshlrev_b32_e32 v4, 2, v4
	v_and_b32_e32 v4, 0xfc, v4
	v_and_or_b32 v4, v24, 3, v4
	s_and_b64 s[16:17], vcc, s[16:17]
	v_cndmask_b32_e64 v4, v4, 0, s[16:17]
	v_or_b32_e32 v32, v4, v0
.LBB0_558:                              ;   in Loop: Header=BB0_444 Depth=2
	s_or_b64 exec, exec, s[76:77]
                                        ; implicit-def: $vgpr0
.LBB0_559:                              ;   in Loop: Header=BB0_444 Depth=2
	s_andn2_saveexec_b64 s[16:17], s[74:75]
; %bb.560:                              ;   in Loop: Header=BB0_444 Depth=2
	v_or_b32_e32 v32, 0x7b, v0
; %bb.561:                              ;   in Loop: Header=BB0_444 Depth=2
	s_or_b64 exec, exec, s[16:17]
                                        ; implicit-def: $vgpr4
                                        ; implicit-def: $vgpr30_vgpr31
.LBB0_562:                              ;   in Loop: Header=BB0_444 Depth=2
	s_andn2_saveexec_b64 s[16:17], s[72:73]
	s_cbranch_execz .LBB0_568
; %bb.563:                              ;   in Loop: Header=BB0_444 Depth=2
	v_cmp_ne_u64_e32 vcc, 0, v[30:31]
                                        ; implicit-def: $vgpr32
	s_and_saveexec_b64 s[72:73], vcc
	s_xor_b64 s[72:73], exec, s[72:73]
; %bb.564:                              ;   in Loop: Header=BB0_444 Depth=2
	v_or_b32_sdwa v32, v4, s50 dst_sel:DWORD dst_unused:UNUSED_PAD src0_sel:BYTE_3 src1_sel:DWORD
                                        ; implicit-def: $vgpr4
; %bb.565:                              ;   in Loop: Header=BB0_444 Depth=2
	s_andn2_saveexec_b64 s[72:73], s[72:73]
; %bb.566:                              ;   in Loop: Header=BB0_444 Depth=2
	v_cmp_lt_i32_e32 vcc, -1, v4
	v_cndmask_b32_e32 v32, v12, v50, vcc
; %bb.567:                              ;   in Loop: Header=BB0_444 Depth=2
	s_or_b64 exec, exec, s[72:73]
.LBB0_568:                              ;   in Loop: Header=BB0_444 Depth=2
	s_or_b64 exec, exec, s[16:17]
	v_cmp_lt_u32_e32 vcc, s47, v18
	v_mov_b32_e32 v4, 0
	v_mov_b32_e32 v19, 0
	s_and_saveexec_b64 s[16:17], vcc
	s_cbranch_execz .LBB0_576
; %bb.569:                              ;   in Loop: Header=BB0_444 Depth=2
	v_lshrrev_b32_e32 v0, 24, v18
	v_cmp_ne_u32_e32 vcc, s48, v0
	v_bfrev_b32_e32 v19, 1
	s_and_saveexec_b64 s[72:73], vcc
	s_cbranch_execz .LBB0_575
; %bb.570:                              ;   in Loop: Header=BB0_444 Depth=2
	v_and_b32_e32 v19, 0x7c000000, v18
	v_bfe_u32 v24, v18, 24, 2
	v_cmp_ne_u32_e32 vcc, s52, v19
                                        ; implicit-def: $vgpr19
	s_and_saveexec_b64 s[74:75], vcc
	s_xor_b64 s[74:75], exec, s[74:75]
	s_cbranch_execz .LBB0_572
; %bb.571:                              ;   in Loop: Header=BB0_444 Depth=2
	v_ffbh_u32_e32 v25, v24
	v_min_u32_e32 v25, 32, v25
	v_subrev_u32_e32 v30, 29, v25
	v_bfe_u32 v19, v18, 26, 5
	v_lshlrev_b64 v[30:31], v30, v[0:1]
	v_sub_u32_e32 v0, 30, v25
	v_cmp_eq_u32_e32 vcc, 0, v19
	v_and_b32_e32 v25, 3, v30
	v_cndmask_b32_e32 v0, v19, v0, vcc
	v_and_b32_e32 v18, 0x80000000, v18
	v_cndmask_b32_e32 v19, v24, v25, vcc
	v_lshl_add_u32 v0, v0, 23, v18
	v_lshl_or_b32 v0, v19, 21, v0
	v_add_u32_e32 v19, 0x38000000, v0
                                        ; implicit-def: $vgpr24
.LBB0_572:                              ;   in Loop: Header=BB0_444 Depth=2
	s_andn2_saveexec_b64 s[74:75], s[74:75]
; %bb.573:                              ;   in Loop: Header=BB0_444 Depth=2
	v_cmp_lt_i32_e32 vcc, -1, v18
	v_cndmask_b32_e32 v0, v5, v8, vcc
	v_cmp_eq_u32_e32 vcc, 0, v24
	v_cndmask_b32_e32 v19, v9, v0, vcc
; %bb.574:                              ;   in Loop: Header=BB0_444 Depth=2
	s_or_b64 exec, exec, s[74:75]
.LBB0_575:                              ;   in Loop: Header=BB0_444 Depth=2
	s_or_b64 exec, exec, s[72:73]
.LBB0_576:                              ;   in Loop: Header=BB0_444 Depth=2
	s_or_b64 exec, exec, s[16:17]
	v_cmp_lt_u32_e32 vcc, s47, v2
	s_and_saveexec_b64 s[16:17], vcc
	s_cbranch_execz .LBB0_584
; %bb.577:                              ;   in Loop: Header=BB0_444 Depth=2
	v_lshrrev_b32_e32 v0, 24, v2
	v_cmp_ne_u32_e32 vcc, s48, v0
	v_bfrev_b32_e32 v4, 1
	s_and_saveexec_b64 s[72:73], vcc
	s_cbranch_execz .LBB0_583
; %bb.578:                              ;   in Loop: Header=BB0_444 Depth=2
	v_and_b32_e32 v4, 0x7c000000, v2
	v_bfe_u32 v18, v2, 24, 2
	v_cmp_ne_u32_e32 vcc, s52, v4
                                        ; implicit-def: $vgpr4
	s_and_saveexec_b64 s[74:75], vcc
	s_xor_b64 s[74:75], exec, s[74:75]
	s_cbranch_execz .LBB0_580
; %bb.579:                              ;   in Loop: Header=BB0_444 Depth=2
	v_ffbh_u32_e32 v24, v18
	v_min_u32_e32 v30, 32, v24
	v_subrev_u32_e32 v24, 29, v30
	v_bfe_u32 v4, v2, 26, 5
	v_lshlrev_b64 v[24:25], v24, v[0:1]
	v_sub_u32_e32 v0, 30, v30
	v_cmp_eq_u32_e32 vcc, 0, v4
	v_and_b32_e32 v24, 3, v24
	v_cndmask_b32_e32 v0, v4, v0, vcc
	v_and_b32_e32 v2, 0x80000000, v2
	v_cndmask_b32_e32 v4, v18, v24, vcc
	v_lshl_add_u32 v0, v0, 23, v2
	v_lshl_or_b32 v0, v4, 21, v0
	v_add_u32_e32 v4, 0x38000000, v0
                                        ; implicit-def: $vgpr18
.LBB0_580:                              ;   in Loop: Header=BB0_444 Depth=2
	s_andn2_saveexec_b64 s[74:75], s[74:75]
; %bb.581:                              ;   in Loop: Header=BB0_444 Depth=2
	v_cmp_lt_i32_e32 vcc, -1, v2
	v_cndmask_b32_e32 v0, v5, v8, vcc
	v_cmp_eq_u32_e32 vcc, 0, v18
	v_cndmask_b32_e32 v4, v9, v0, vcc
; %bb.582:                              ;   in Loop: Header=BB0_444 Depth=2
	s_or_b64 exec, exec, s[74:75]
.LBB0_583:                              ;   in Loop: Header=BB0_444 Depth=2
	s_or_b64 exec, exec, s[72:73]
.LBB0_584:                              ;   in Loop: Header=BB0_444 Depth=2
	s_or_b64 exec, exec, s[16:17]
	v_mul_f32_e32 v18, v19, v4
	v_and_b32_e32 v24, 0x7f800000, v18
	v_mov_b32_e32 v25, v3
	v_cmp_ne_u64_e32 vcc, s[56:57], v[24:25]
	v_and_b32_e32 v2, 0x7fffff, v18
                                        ; implicit-def: $vgpr4
	s_and_saveexec_b64 s[16:17], vcc
	s_xor_b64 s[72:73], exec, s[16:17]
	s_cbranch_execz .LBB0_598
; %bb.585:                              ;   in Loop: Header=BB0_444 Depth=2
	v_and_b32_e32 v24, 0x7fffffff, v18
	v_mov_b32_e32 v25, v3
	v_cmp_gt_u64_e32 vcc, s[58:59], v[24:25]
	v_and_b32_sdwa v0, v18, s48 dst_sel:DWORD dst_unused:UNUSED_PAD src0_sel:BYTE_3 src1_sel:DWORD
                                        ; implicit-def: $vgpr4
	s_and_saveexec_b64 s[16:17], vcc
	s_xor_b64 s[74:75], exec, s[16:17]
	s_cbranch_execz .LBB0_595
; %bb.586:                              ;   in Loop: Header=BB0_444 Depth=2
	v_mov_b32_e32 v4, 0
	v_cmp_ne_u32_e32 vcc, 0, v18
	s_and_saveexec_b64 s[76:77], vcc
	s_cbranch_execz .LBB0_594
; %bb.587:                              ;   in Loop: Header=BB0_444 Depth=2
	v_bfe_u32 v4, v18, 23, 8
	v_cmp_gt_u32_e64 s[16:17], s49, v4
	v_sub_u32_e32 v18, 0x71, v4
	v_cmp_eq_u32_e32 vcc, 0, v4
	v_cndmask_b32_e64 v18, 0, v18, s[16:17]
	v_cndmask_b32_e32 v24, v18, v40, vcc
	v_or_b32_e32 v19, 0x800000, v2
	v_add_u32_e32 v18, 21, v24
	v_cndmask_b32_e32 v2, v19, v2, vcc
	v_lshlrev_b64 v[18:19], v18, -1
	v_add_u32_e32 v25, 20, v24
	v_lshlrev_b64 v[30:31], v25, 1
	v_bfi_b32 v19, v19, 0, 0
	v_bfi_b32 v18, v18, 0, v2
	v_cmp_eq_u64_e64 s[16:17], v[18:19], v[30:31]
	v_lshrrev_b64 v[18:19], v24, v[2:3]
	v_mov_b32_e32 v31, v19
	v_mov_b32_e32 v30, v18
	s_and_saveexec_b64 s[78:79], s[16:17]
; %bb.588:                              ;   in Loop: Header=BB0_444 Depth=2
	v_bfe_u32 v2, v18, 21, 1
	v_add_co_u32_e64 v2, s[16:17], v18, v2
	v_add_co_u32_e64 v30, s[16:17], -1, v2
; %bb.589:                              ;   in Loop: Header=BB0_444 Depth=2
	s_or_b64 exec, exec, s[78:79]
	v_add_u32_e32 v2, 0xffffff81, v4
	v_cndmask_b32_e32 v2, v2, v41, vcc
	v_lshrrev_b32_e32 v4, 23, v18
	v_add3_u32 v25, v24, v2, v4
	v_add_u32_e32 v24, 14, v25
	v_and_b32_e32 v2, 0x1fffff, v30
	v_add_u32_e32 v2, v2, v18
	v_cmp_ne_u32_e32 vcc, 0, v24
                                        ; implicit-def: $vgpr18_vgpr19
                                        ; implicit-def: $vgpr4
	s_and_saveexec_b64 s[16:17], vcc
	s_xor_b64 s[16:17], exec, s[16:17]
; %bb.590:                              ;   in Loop: Header=BB0_444 Depth=2
	v_cmp_lt_u64_e32 vcc, s[60:61], v[2:3]
	v_add_u32_e32 v4, 15, v25
	v_cndmask_b32_e64 v18, 0, 1, vcc
	v_cndmask_b32_e32 v4, v24, v4, vcc
	v_lshrrev_b64 v[18:19], v18, v[2:3]
; %bb.591:                              ;   in Loop: Header=BB0_444 Depth=2
	s_andn2_saveexec_b64 s[16:17], s[16:17]
; %bb.592:                              ;   in Loop: Header=BB0_444 Depth=2
	v_mov_b32_e32 v19, v3
	v_bfe_u32 v4, v2, 23, 1
	v_mov_b32_e32 v18, v2
; %bb.593:                              ;   in Loop: Header=BB0_444 Depth=2
	s_or_b64 exec, exec, s[16:17]
	v_lshrrev_b64 v[18:19], 21, v[18:19]
	v_cmp_gt_i32_e32 vcc, 32, v4
	v_cndmask_b32_e32 v19, 0, v19, vcc
	v_cndmask_b32_e32 v18, 3, v18, vcc
	v_min_i32_e32 v2, 31, v4
	v_cmp_eq_u64_e64 s[16:17], 0, v[18:19]
	v_lshlrev_b32_e32 v2, 2, v2
	v_cmp_eq_u32_e32 vcc, 0, v4
	v_and_b32_e32 v2, 0xfc, v2
	v_and_or_b32 v2, v18, 3, v2
	s_and_b64 s[16:17], vcc, s[16:17]
	v_cndmask_b32_e64 v2, v2, 0, s[16:17]
	v_or_b32_e32 v4, v2, v0
.LBB0_594:                              ;   in Loop: Header=BB0_444 Depth=2
	s_or_b64 exec, exec, s[76:77]
                                        ; implicit-def: $vgpr0
.LBB0_595:                              ;   in Loop: Header=BB0_444 Depth=2
	s_andn2_saveexec_b64 s[16:17], s[74:75]
; %bb.596:                              ;   in Loop: Header=BB0_444 Depth=2
	v_or_b32_e32 v4, 0x7b, v0
; %bb.597:                              ;   in Loop: Header=BB0_444 Depth=2
	s_or_b64 exec, exec, s[16:17]
                                        ; implicit-def: $vgpr18
.LBB0_598:                              ;   in Loop: Header=BB0_444 Depth=2
	s_andn2_saveexec_b64 s[16:17], s[72:73]
	s_cbranch_execz .LBB0_604
; %bb.599:                              ;   in Loop: Header=BB0_444 Depth=2
	v_cmp_ne_u64_e32 vcc, 0, v[2:3]
                                        ; implicit-def: $vgpr4
	s_and_saveexec_b64 s[72:73], vcc
	s_xor_b64 s[72:73], exec, s[72:73]
; %bb.600:                              ;   in Loop: Header=BB0_444 Depth=2
	v_or_b32_sdwa v4, v18, s50 dst_sel:DWORD dst_unused:UNUSED_PAD src0_sel:BYTE_3 src1_sel:DWORD
                                        ; implicit-def: $vgpr18
; %bb.601:                              ;   in Loop: Header=BB0_444 Depth=2
	s_andn2_saveexec_b64 s[72:73], s[72:73]
; %bb.602:                              ;   in Loop: Header=BB0_444 Depth=2
	v_cmp_lt_i32_e32 vcc, -1, v18
	v_cndmask_b32_e32 v4, v12, v50, vcc
; %bb.603:                              ;   in Loop: Header=BB0_444 Depth=2
	s_or_b64 exec, exec, s[72:73]
.LBB0_604:                              ;   in Loop: Header=BB0_444 Depth=2
	s_or_b64 exec, exec, s[16:17]
	v_cmp_ne_u16_sdwa s[72:73], v20, v3 src0_sel:BYTE_0 src1_sel:DWORD
	v_mov_b32_e32 v0, 0
	v_mov_b32_e32 v18, 0
	s_and_saveexec_b64 s[16:17], s[72:73]
	s_cbranch_execz .LBB0_612
; %bb.605:                              ;   in Loop: Header=BB0_444 Depth=2
	v_cmp_ne_u16_sdwa s[74:75], sext(v20), s38 src0_sel:BYTE_0 src1_sel:DWORD
	v_bfrev_b32_e32 v18, 1
	s_and_saveexec_b64 s[72:73], s[74:75]
	s_cbranch_execz .LBB0_611
; %bb.606:                              ;   in Loop: Header=BB0_444 Depth=2
	v_and_b32_e32 v18, 0x7c, v20
	v_and_b32_e32 v2, 3, v20
	v_cmp_ne_u32_e32 vcc, s39, v18
                                        ; implicit-def: $vgpr18
	s_and_saveexec_b64 s[74:75], vcc
	s_xor_b64 s[74:75], exec, s[74:75]
	s_cbranch_execz .LBB0_608
; %bb.607:                              ;   in Loop: Header=BB0_444 Depth=2
	v_ffbh_u32_e32 v18, v2
	v_min_u32_e32 v25, 32, v18
	v_subrev_u32_e32 v18, 29, v25
	v_lshlrev_b64 v[18:19], v18, v[20:21]
	v_bfe_u32 v24, v20, 2, 5
	v_and_b32_e32 v18, 3, v18
	v_cmp_eq_u32_e32 vcc, 0, v24
	v_sub_u32_e32 v19, 30, v25
	v_cndmask_b32_e32 v2, v2, v18, vcc
	v_lshlrev_b32_e32 v18, 24, v20
	v_cndmask_b32_e32 v19, v24, v19, vcc
	v_and_b32_e32 v18, 0x80000000, v18
	v_lshl_add_u32 v18, v19, 23, v18
	v_lshl_or_b32 v2, v2, 21, v18
	v_add_u32_e32 v18, 0x38000000, v2
                                        ; implicit-def: $vgpr2
.LBB0_608:                              ;   in Loop: Header=BB0_444 Depth=2
	s_andn2_saveexec_b64 s[74:75], s[74:75]
; %bb.609:                              ;   in Loop: Header=BB0_444 Depth=2
	v_cmp_gt_i16_sdwa vcc, sext(v20), v27 src0_sel:BYTE_0 src1_sel:DWORD
	v_cndmask_b32_e32 v18, v5, v8, vcc
	v_cmp_eq_u32_e32 vcc, 0, v2
	v_cndmask_b32_e32 v18, v9, v18, vcc
; %bb.610:                              ;   in Loop: Header=BB0_444 Depth=2
	s_or_b64 exec, exec, s[74:75]
.LBB0_611:                              ;   in Loop: Header=BB0_444 Depth=2
	s_or_b64 exec, exec, s[72:73]
.LBB0_612:                              ;   in Loop: Header=BB0_444 Depth=2
	s_or_b64 exec, exec, s[16:17]
	v_alignbit_b32 v2, v34, v35, v33
	v_cmp_ne_u16_sdwa s[72:73], v2, v3 src0_sel:BYTE_0 src1_sel:DWORD
	s_and_saveexec_b64 s[16:17], s[72:73]
	s_cbranch_execz .LBB0_620
; %bb.613:                              ;   in Loop: Header=BB0_444 Depth=2
	v_cmp_ne_u16_sdwa s[74:75], sext(v2), s38 src0_sel:BYTE_0 src1_sel:DWORD
	v_bfrev_b32_e32 v0, 1
	s_and_saveexec_b64 s[72:73], s[74:75]
	s_cbranch_execz .LBB0_619
; %bb.614:                              ;   in Loop: Header=BB0_444 Depth=2
	v_and_b32_e32 v0, 0x7c, v2
	v_and_b32_e32 v19, 3, v2
	v_cmp_ne_u32_e32 vcc, s39, v0
                                        ; implicit-def: $vgpr0
	s_and_saveexec_b64 s[74:75], vcc
	s_xor_b64 s[74:75], exec, s[74:75]
	s_cbranch_execz .LBB0_616
; %bb.615:                              ;   in Loop: Header=BB0_444 Depth=2
	v_ffbh_u32_e32 v21, v19
	v_min_u32_e32 v21, 32, v21
	v_bfe_u32 v0, v2, 2, 5
	v_subrev_u32_e32 v24, 29, v21
	v_lshlrev_b64 v[24:25], v24, v[2:3]
	v_sub_u32_e32 v21, 30, v21
	v_cmp_eq_u32_e32 vcc, 0, v0
	v_cndmask_b32_e32 v0, v0, v21, vcc
	v_lshlrev_b32_e32 v21, 24, v2
	v_and_b32_e32 v24, 3, v24
	v_and_b32_e32 v21, 0x80000000, v21
	v_cndmask_b32_e32 v19, v19, v24, vcc
	v_lshl_add_u32 v0, v0, 23, v21
	v_lshl_or_b32 v0, v19, 21, v0
	v_add_u32_e32 v0, 0x38000000, v0
                                        ; implicit-def: $vgpr19
.LBB0_616:                              ;   in Loop: Header=BB0_444 Depth=2
	s_andn2_saveexec_b64 s[74:75], s[74:75]
; %bb.617:                              ;   in Loop: Header=BB0_444 Depth=2
	v_cmp_gt_i16_sdwa vcc, sext(v2), v27 src0_sel:BYTE_0 src1_sel:DWORD
	v_cndmask_b32_e32 v0, v5, v8, vcc
	v_cmp_eq_u32_e32 vcc, 0, v19
	v_cndmask_b32_e32 v0, v9, v0, vcc
; %bb.618:                              ;   in Loop: Header=BB0_444 Depth=2
	s_or_b64 exec, exec, s[74:75]
.LBB0_619:                              ;   in Loop: Header=BB0_444 Depth=2
	s_or_b64 exec, exec, s[72:73]
.LBB0_620:                              ;   in Loop: Header=BB0_444 Depth=2
	s_or_b64 exec, exec, s[16:17]
	v_mul_f32_e32 v24, v18, v0
	v_and_b32_e32 v30, 0x7f800000, v24
	v_mov_b32_e32 v31, v3
	v_cmp_ne_u64_e32 vcc, s[56:57], v[30:31]
	v_and_b32_e32 v18, 0x7fffff, v24
	v_mov_b32_e32 v19, v3
                                        ; implicit-def: $vgpr21
	s_and_saveexec_b64 s[16:17], vcc
	s_xor_b64 s[72:73], exec, s[16:17]
	s_cbranch_execz .LBB0_634
; %bb.621:                              ;   in Loop: Header=BB0_444 Depth=2
	v_and_b32_e32 v30, 0x7fffffff, v24
	v_mov_b32_e32 v31, v3
	v_cmp_gt_u64_e32 vcc, s[58:59], v[30:31]
	v_and_b32_sdwa v0, v24, s48 dst_sel:DWORD dst_unused:UNUSED_PAD src0_sel:BYTE_3 src1_sel:DWORD
                                        ; implicit-def: $vgpr21
	s_and_saveexec_b64 s[16:17], vcc
	s_xor_b64 s[74:75], exec, s[16:17]
	s_cbranch_execz .LBB0_631
; %bb.622:                              ;   in Loop: Header=BB0_444 Depth=2
	v_mov_b32_e32 v21, 0
	v_cmp_ne_u32_e32 vcc, 0, v24
	s_and_saveexec_b64 s[76:77], vcc
	s_cbranch_execz .LBB0_630
; %bb.623:                              ;   in Loop: Header=BB0_444 Depth=2
	v_bfe_u32 v21, v24, 23, 8
	v_cmp_gt_u32_e64 s[16:17], s49, v21
	v_sub_u32_e32 v24, 0x71, v21
	v_cmp_eq_u32_e32 vcc, 0, v21
	v_cndmask_b32_e64 v24, 0, v24, s[16:17]
	v_or_b32_e32 v25, 0x800000, v18
	v_cndmask_b32_e32 v24, v24, v40, vcc
	v_cndmask_b32_e32 v18, v25, v18, vcc
	v_add_u32_e32 v25, 21, v24
	v_lshlrev_b64 v[30:31], v25, -1
	v_add_u32_e32 v25, 20, v24
	v_bfi_b32 v30, v30, 0, v18
	v_lshlrev_b64 v[33:34], v25, 1
	v_lshrrev_b64 v[18:19], v24, v[18:19]
	v_bfi_b32 v31, v31, 0, 0
	v_cmp_eq_u64_e64 s[16:17], v[30:31], v[33:34]
	v_mov_b32_e32 v31, v19
	v_mov_b32_e32 v30, v18
	s_and_saveexec_b64 s[78:79], s[16:17]
; %bb.624:                              ;   in Loop: Header=BB0_444 Depth=2
	v_bfe_u32 v19, v18, 21, 1
	v_add_co_u32_e64 v19, s[16:17], v18, v19
	v_add_co_u32_e64 v30, s[16:17], -1, v19
; %bb.625:                              ;   in Loop: Header=BB0_444 Depth=2
	s_or_b64 exec, exec, s[78:79]
	v_add_u32_e32 v19, 0xffffff81, v21
	v_cndmask_b32_e32 v19, v19, v41, vcc
	v_lshrrev_b32_e32 v21, 23, v18
	v_add3_u32 v25, v24, v19, v21
	v_add_u32_e32 v24, 14, v25
	v_and_b32_e32 v19, 0x1fffff, v30
	v_add_u32_e32 v18, v19, v18
	v_mov_b32_e32 v19, v3
	v_cmp_ne_u32_e32 vcc, 0, v24
                                        ; implicit-def: $vgpr21
	s_and_saveexec_b64 s[16:17], vcc
	s_xor_b64 s[16:17], exec, s[16:17]
; %bb.626:                              ;   in Loop: Header=BB0_444 Depth=2
	v_cmp_lt_u64_e32 vcc, s[60:61], v[18:19]
	v_add_u32_e32 v21, 15, v25
	v_cndmask_b32_e32 v21, v24, v21, vcc
	v_cndmask_b32_e64 v24, 0, 1, vcc
	v_lshrrev_b64 v[18:19], v24, v[18:19]
; %bb.627:                              ;   in Loop: Header=BB0_444 Depth=2
	s_andn2_saveexec_b64 s[16:17], s[16:17]
; %bb.628:                              ;   in Loop: Header=BB0_444 Depth=2
	v_bfe_u32 v21, v18, 23, 1
; %bb.629:                              ;   in Loop: Header=BB0_444 Depth=2
	s_or_b64 exec, exec, s[16:17]
	v_lshrrev_b64 v[18:19], 21, v[18:19]
	v_cmp_gt_i32_e32 vcc, 32, v21
	v_cndmask_b32_e32 v19, 0, v19, vcc
	v_cndmask_b32_e32 v18, 3, v18, vcc
	v_cmp_eq_u64_e64 s[16:17], 0, v[18:19]
	v_min_i32_e32 v19, 31, v21
	v_lshlrev_b32_e32 v19, 2, v19
	v_cmp_eq_u32_e32 vcc, 0, v21
	v_and_b32_e32 v19, 0xfc, v19
	v_and_or_b32 v18, v18, 3, v19
	s_and_b64 s[16:17], vcc, s[16:17]
	v_cndmask_b32_e64 v18, v18, 0, s[16:17]
	v_or_b32_e32 v21, v18, v0
.LBB0_630:                              ;   in Loop: Header=BB0_444 Depth=2
	s_or_b64 exec, exec, s[76:77]
                                        ; implicit-def: $vgpr0
.LBB0_631:                              ;   in Loop: Header=BB0_444 Depth=2
	s_andn2_saveexec_b64 s[16:17], s[74:75]
; %bb.632:                              ;   in Loop: Header=BB0_444 Depth=2
	v_or_b32_e32 v21, 0x7b, v0
; %bb.633:                              ;   in Loop: Header=BB0_444 Depth=2
	s_or_b64 exec, exec, s[16:17]
                                        ; implicit-def: $vgpr24
                                        ; implicit-def: $vgpr18_vgpr19
.LBB0_634:                              ;   in Loop: Header=BB0_444 Depth=2
	s_andn2_saveexec_b64 s[16:17], s[72:73]
	s_cbranch_execz .LBB0_640
; %bb.635:                              ;   in Loop: Header=BB0_444 Depth=2
	v_cmp_ne_u64_e32 vcc, 0, v[18:19]
                                        ; implicit-def: $vgpr21
	s_and_saveexec_b64 s[72:73], vcc
	s_xor_b64 s[72:73], exec, s[72:73]
; %bb.636:                              ;   in Loop: Header=BB0_444 Depth=2
	v_or_b32_sdwa v21, v24, s50 dst_sel:DWORD dst_unused:UNUSED_PAD src0_sel:BYTE_3 src1_sel:DWORD
                                        ; implicit-def: $vgpr24
; %bb.637:                              ;   in Loop: Header=BB0_444 Depth=2
	s_andn2_saveexec_b64 s[72:73], s[72:73]
; %bb.638:                              ;   in Loop: Header=BB0_444 Depth=2
	v_cmp_lt_i32_e32 vcc, -1, v24
	v_cndmask_b32_e32 v21, v12, v50, vcc
; %bb.639:                              ;   in Loop: Header=BB0_444 Depth=2
	s_or_b64 exec, exec, s[72:73]
.LBB0_640:                              ;   in Loop: Header=BB0_444 Depth=2
	s_or_b64 exec, exec, s[16:17]
	v_lshrrev_b16_e32 v18, 8, v20
	v_cmp_ne_u16_e32 vcc, 0, v18
	v_mov_b32_e32 v0, 0
	v_mov_b32_e32 v24, 0
	s_and_saveexec_b64 s[16:17], vcc
	s_cbranch_execz .LBB0_648
; %bb.641:                              ;   in Loop: Header=BB0_444 Depth=2
	v_cmp_ne_u16_e32 vcc, s48, v18
	v_bfrev_b32_e32 v24, 1
	s_and_saveexec_b64 s[72:73], vcc
	s_cbranch_execz .LBB0_647
; %bb.642:                              ;   in Loop: Header=BB0_444 Depth=2
	v_and_b32_e32 v19, 0x7c, v18
	v_and_b32_e32 v25, 3, v18
	v_cmp_ne_u32_e32 vcc, s39, v19
                                        ; implicit-def: $vgpr24
	s_and_saveexec_b64 s[74:75], vcc
	s_xor_b64 s[74:75], exec, s[74:75]
	s_cbranch_execz .LBB0_644
; %bb.643:                              ;   in Loop: Header=BB0_444 Depth=2
	v_ffbh_u32_e32 v30, v25
	v_min_u32_e32 v30, 32, v30
	v_mov_b32_e32 v19, v3
	v_subrev_u32_e32 v31, 29, v30
	v_bfe_u32 v24, v18, 2, 5
	v_lshlrev_b64 v[18:19], v31, v[18:19]
	v_sub_u32_e32 v19, 30, v30
	v_cmp_eq_u32_e32 vcc, 0, v24
	v_cndmask_b32_e32 v19, v24, v19, vcc
	v_lshlrev_b32_e32 v24, 16, v20
	v_and_b32_e32 v18, 3, v18
	v_and_b32_e32 v24, 0x80000000, v24
	v_cndmask_b32_e32 v18, v25, v18, vcc
	v_lshl_add_u32 v19, v19, 23, v24
	v_lshl_or_b32 v18, v18, 21, v19
	v_add_u32_e32 v24, 0x38000000, v18
                                        ; implicit-def: $vgpr25
.LBB0_644:                              ;   in Loop: Header=BB0_444 Depth=2
	s_andn2_saveexec_b64 s[74:75], s[74:75]
; %bb.645:                              ;   in Loop: Header=BB0_444 Depth=2
	v_cmp_lt_i16_e32 vcc, -1, v20
	v_cndmask_b32_e32 v18, v5, v8, vcc
	v_cmp_eq_u32_e32 vcc, 0, v25
	v_cndmask_b32_e32 v24, v9, v18, vcc
; %bb.646:                              ;   in Loop: Header=BB0_444 Depth=2
	s_or_b64 exec, exec, s[74:75]
.LBB0_647:                              ;   in Loop: Header=BB0_444 Depth=2
	s_or_b64 exec, exec, s[72:73]
.LBB0_648:                              ;   in Loop: Header=BB0_444 Depth=2
	s_or_b64 exec, exec, s[16:17]
	v_lshrrev_b16_e32 v18, 8, v2
	v_cmp_ne_u16_e32 vcc, 0, v18
	s_and_saveexec_b64 s[16:17], vcc
	s_cbranch_execz .LBB0_656
; %bb.649:                              ;   in Loop: Header=BB0_444 Depth=2
	v_cmp_ne_u16_e32 vcc, s48, v18
	v_bfrev_b32_e32 v0, 1
	s_and_saveexec_b64 s[72:73], vcc
	s_cbranch_execz .LBB0_655
; %bb.650:                              ;   in Loop: Header=BB0_444 Depth=2
	v_and_b32_e32 v0, 0x7c, v18
	v_and_b32_e32 v25, 3, v18
	v_cmp_ne_u32_e32 vcc, s39, v0
                                        ; implicit-def: $vgpr0
	s_and_saveexec_b64 s[74:75], vcc
	s_xor_b64 s[74:75], exec, s[74:75]
	s_cbranch_execz .LBB0_652
; %bb.651:                              ;   in Loop: Header=BB0_444 Depth=2
	v_ffbh_u32_e32 v30, v25
	v_min_u32_e32 v30, 32, v30
	v_mov_b32_e32 v19, v3
	v_subrev_u32_e32 v31, 29, v30
	v_bfe_u32 v0, v18, 2, 5
	v_lshlrev_b64 v[18:19], v31, v[18:19]
	v_sub_u32_e32 v19, 30, v30
	v_cmp_eq_u32_e32 vcc, 0, v0
	v_cndmask_b32_e32 v0, v0, v19, vcc
	v_lshlrev_b32_e32 v19, 16, v2
	v_and_b32_e32 v18, 3, v18
	v_and_b32_e32 v19, 0x80000000, v19
	v_cndmask_b32_e32 v18, v25, v18, vcc
	v_lshl_add_u32 v0, v0, 23, v19
	v_lshl_or_b32 v0, v18, 21, v0
	v_add_u32_e32 v0, 0x38000000, v0
                                        ; implicit-def: $vgpr25
.LBB0_652:                              ;   in Loop: Header=BB0_444 Depth=2
	s_andn2_saveexec_b64 s[74:75], s[74:75]
; %bb.653:                              ;   in Loop: Header=BB0_444 Depth=2
	v_cmp_lt_i16_e32 vcc, -1, v2
	v_cndmask_b32_e32 v0, v5, v8, vcc
	v_cmp_eq_u32_e32 vcc, 0, v25
	v_cndmask_b32_e32 v0, v9, v0, vcc
; %bb.654:                              ;   in Loop: Header=BB0_444 Depth=2
	s_or_b64 exec, exec, s[74:75]
.LBB0_655:                              ;   in Loop: Header=BB0_444 Depth=2
	s_or_b64 exec, exec, s[72:73]
.LBB0_656:                              ;   in Loop: Header=BB0_444 Depth=2
	s_or_b64 exec, exec, s[16:17]
	v_mul_f32_e32 v25, v24, v0
	v_and_b32_e32 v30, 0x7f800000, v25
	v_mov_b32_e32 v31, v3
	v_cmp_ne_u64_e32 vcc, s[56:57], v[30:31]
	v_and_b32_e32 v18, 0x7fffff, v25
	v_mov_b32_e32 v19, v3
                                        ; implicit-def: $vgpr24
	s_and_saveexec_b64 s[16:17], vcc
	s_xor_b64 s[72:73], exec, s[16:17]
	s_cbranch_execz .LBB0_670
; %bb.657:                              ;   in Loop: Header=BB0_444 Depth=2
	v_and_b32_e32 v30, 0x7fffffff, v25
	v_mov_b32_e32 v31, v3
	v_cmp_gt_u64_e32 vcc, s[58:59], v[30:31]
	v_and_b32_sdwa v0, v25, s48 dst_sel:DWORD dst_unused:UNUSED_PAD src0_sel:BYTE_3 src1_sel:DWORD
                                        ; implicit-def: $vgpr24
	s_and_saveexec_b64 s[16:17], vcc
	s_xor_b64 s[74:75], exec, s[16:17]
	s_cbranch_execz .LBB0_667
; %bb.658:                              ;   in Loop: Header=BB0_444 Depth=2
	v_mov_b32_e32 v24, 0
	v_cmp_ne_u32_e32 vcc, 0, v25
	s_and_saveexec_b64 s[76:77], vcc
	s_cbranch_execz .LBB0_666
; %bb.659:                              ;   in Loop: Header=BB0_444 Depth=2
	v_bfe_u32 v24, v25, 23, 8
	v_cmp_gt_u32_e64 s[16:17], s49, v24
	v_sub_u32_e32 v25, 0x71, v24
	v_cmp_eq_u32_e32 vcc, 0, v24
	v_cndmask_b32_e64 v25, 0, v25, s[16:17]
	v_or_b32_e32 v30, 0x800000, v18
	v_cndmask_b32_e32 v25, v25, v40, vcc
	v_cndmask_b32_e32 v18, v30, v18, vcc
	v_add_u32_e32 v30, 21, v25
	v_lshlrev_b64 v[30:31], v30, -1
	v_add_u32_e32 v33, 20, v25
	v_bfi_b32 v30, v30, 0, v18
	v_lshlrev_b64 v[33:34], v33, 1
	v_lshrrev_b64 v[18:19], v25, v[18:19]
	v_bfi_b32 v31, v31, 0, 0
	v_cmp_eq_u64_e64 s[16:17], v[30:31], v[33:34]
	v_mov_b32_e32 v31, v19
	v_mov_b32_e32 v30, v18
	s_and_saveexec_b64 s[78:79], s[16:17]
; %bb.660:                              ;   in Loop: Header=BB0_444 Depth=2
	v_bfe_u32 v19, v18, 21, 1
	v_add_co_u32_e64 v19, s[16:17], v18, v19
	v_add_co_u32_e64 v30, s[16:17], -1, v19
; %bb.661:                              ;   in Loop: Header=BB0_444 Depth=2
	s_or_b64 exec, exec, s[78:79]
	v_add_u32_e32 v19, 0xffffff81, v24
	v_cndmask_b32_e32 v19, v19, v41, vcc
	v_lshrrev_b32_e32 v24, 23, v18
	v_add3_u32 v31, v25, v19, v24
	v_add_u32_e32 v25, 14, v31
	v_and_b32_e32 v19, 0x1fffff, v30
	v_add_u32_e32 v18, v19, v18
	v_mov_b32_e32 v19, v3
	v_cmp_ne_u32_e32 vcc, 0, v25
                                        ; implicit-def: $vgpr24
	s_and_saveexec_b64 s[16:17], vcc
	s_xor_b64 s[16:17], exec, s[16:17]
; %bb.662:                              ;   in Loop: Header=BB0_444 Depth=2
	v_cmp_lt_u64_e32 vcc, s[60:61], v[18:19]
	v_add_u32_e32 v24, 15, v31
	v_cndmask_b32_e32 v24, v25, v24, vcc
	v_cndmask_b32_e64 v25, 0, 1, vcc
	v_lshrrev_b64 v[18:19], v25, v[18:19]
; %bb.663:                              ;   in Loop: Header=BB0_444 Depth=2
	s_andn2_saveexec_b64 s[16:17], s[16:17]
; %bb.664:                              ;   in Loop: Header=BB0_444 Depth=2
	v_bfe_u32 v24, v18, 23, 1
; %bb.665:                              ;   in Loop: Header=BB0_444 Depth=2
	s_or_b64 exec, exec, s[16:17]
	v_lshrrev_b64 v[18:19], 21, v[18:19]
	v_cmp_gt_i32_e32 vcc, 32, v24
	v_cndmask_b32_e32 v19, 0, v19, vcc
	v_cndmask_b32_e32 v18, 3, v18, vcc
	v_cmp_eq_u64_e64 s[16:17], 0, v[18:19]
	v_min_i32_e32 v19, 31, v24
	v_lshlrev_b32_e32 v19, 2, v19
	v_cmp_eq_u32_e32 vcc, 0, v24
	v_and_b32_e32 v19, 0xfc, v19
	v_and_or_b32 v18, v18, 3, v19
	s_and_b64 s[16:17], vcc, s[16:17]
	v_cndmask_b32_e64 v18, v18, 0, s[16:17]
	v_or_b32_e32 v24, v18, v0
.LBB0_666:                              ;   in Loop: Header=BB0_444 Depth=2
	s_or_b64 exec, exec, s[76:77]
                                        ; implicit-def: $vgpr0
.LBB0_667:                              ;   in Loop: Header=BB0_444 Depth=2
	s_andn2_saveexec_b64 s[16:17], s[74:75]
; %bb.668:                              ;   in Loop: Header=BB0_444 Depth=2
	v_or_b32_e32 v24, 0x7b, v0
; %bb.669:                              ;   in Loop: Header=BB0_444 Depth=2
	s_or_b64 exec, exec, s[16:17]
                                        ; implicit-def: $vgpr25
                                        ; implicit-def: $vgpr18_vgpr19
.LBB0_670:                              ;   in Loop: Header=BB0_444 Depth=2
	s_andn2_saveexec_b64 s[16:17], s[72:73]
	s_cbranch_execz .LBB0_676
; %bb.671:                              ;   in Loop: Header=BB0_444 Depth=2
	v_cmp_ne_u64_e32 vcc, 0, v[18:19]
                                        ; implicit-def: $vgpr24
	s_and_saveexec_b64 s[72:73], vcc
	s_xor_b64 s[72:73], exec, s[72:73]
; %bb.672:                              ;   in Loop: Header=BB0_444 Depth=2
	v_or_b32_sdwa v24, v25, s50 dst_sel:DWORD dst_unused:UNUSED_PAD src0_sel:BYTE_3 src1_sel:DWORD
                                        ; implicit-def: $vgpr25
; %bb.673:                              ;   in Loop: Header=BB0_444 Depth=2
	s_andn2_saveexec_b64 s[72:73], s[72:73]
; %bb.674:                              ;   in Loop: Header=BB0_444 Depth=2
	v_cmp_lt_i32_e32 vcc, -1, v25
	v_cndmask_b32_e32 v24, v12, v50, vcc
; %bb.675:                              ;   in Loop: Header=BB0_444 Depth=2
	s_or_b64 exec, exec, s[72:73]
.LBB0_676:                              ;   in Loop: Header=BB0_444 Depth=2
	s_or_b64 exec, exec, s[16:17]
	v_lshrrev_b32_e32 v0, 16, v20
	v_cmp_ne_u16_sdwa s[72:73], v0, v3 src0_sel:BYTE_0 src1_sel:DWORD
	v_mov_b32_e32 v18, 0
	v_mov_b32_e32 v19, 0
	s_and_saveexec_b64 s[16:17], s[72:73]
	s_cbranch_execz .LBB0_684
; %bb.677:                              ;   in Loop: Header=BB0_444 Depth=2
	v_cmp_ne_u16_sdwa s[74:75], v0, s48 src0_sel:BYTE_0 src1_sel:DWORD
	v_bfrev_b32_e32 v19, 1
	s_and_saveexec_b64 s[72:73], s[74:75]
	s_cbranch_execz .LBB0_683
; %bb.678:                              ;   in Loop: Header=BB0_444 Depth=2
	v_and_b32_e32 v19, 0x7c0000, v20
	v_bfe_u32 v25, v20, 16, 2
	v_cmp_ne_u32_e32 vcc, s51, v19
                                        ; implicit-def: $vgpr19
	s_and_saveexec_b64 s[74:75], vcc
	s_xor_b64 s[74:75], exec, s[74:75]
	s_cbranch_execz .LBB0_680
; %bb.679:                              ;   in Loop: Header=BB0_444 Depth=2
	v_ffbh_u32_e32 v30, v25
	v_min_u32_e32 v33, 32, v30
	v_subrev_u32_e32 v30, 29, v33
	v_lshlrev_b64 v[30:31], v30, v[0:1]
	v_bfe_u32 v19, v20, 18, 5
	v_sub_u32_e32 v0, 30, v33
	v_and_b32_e32 v30, 3, v30
	v_cmp_eq_u32_e32 vcc, 0, v19
	v_cndmask_b32_e32 v0, v19, v0, vcc
	v_cndmask_b32_e32 v19, v25, v30, vcc
	v_lshlrev_b32_e32 v25, 8, v20
	v_and_b32_e32 v25, 0x80000000, v25
	v_lshl_add_u32 v0, v0, 23, v25
	v_lshl_or_b32 v0, v19, 21, v0
	v_add_u32_e32 v19, 0x38000000, v0
                                        ; implicit-def: $vgpr25
                                        ; implicit-def: $vgpr0
.LBB0_680:                              ;   in Loop: Header=BB0_444 Depth=2
	s_andn2_saveexec_b64 s[74:75], s[74:75]
; %bb.681:                              ;   in Loop: Header=BB0_444 Depth=2
	v_cmp_gt_i16_sdwa vcc, sext(v0), v27 src0_sel:BYTE_0 src1_sel:DWORD
	v_cndmask_b32_e32 v0, v5, v8, vcc
	v_cmp_eq_u32_e32 vcc, 0, v25
	v_cndmask_b32_e32 v19, v9, v0, vcc
; %bb.682:                              ;   in Loop: Header=BB0_444 Depth=2
	s_or_b64 exec, exec, s[74:75]
.LBB0_683:                              ;   in Loop: Header=BB0_444 Depth=2
	s_or_b64 exec, exec, s[72:73]
.LBB0_684:                              ;   in Loop: Header=BB0_444 Depth=2
	s_or_b64 exec, exec, s[16:17]
	v_and_b32_sdwa v25, v2, s37 dst_sel:DWORD dst_unused:UNUSED_PAD src0_sel:WORD_1 src1_sel:DWORD
	v_lshrrev_b32_e32 v0, 16, v2
	v_cmp_ne_u16_e32 vcc, 0, v25
	s_and_saveexec_b64 s[16:17], vcc
	s_cbranch_execz .LBB0_692
; %bb.685:                              ;   in Loop: Header=BB0_444 Depth=2
	v_cmp_ne_u16_e32 vcc, s48, v25
	v_bfrev_b32_e32 v18, 1
	s_and_saveexec_b64 s[72:73], vcc
	s_cbranch_execz .LBB0_691
; %bb.686:                              ;   in Loop: Header=BB0_444 Depth=2
	v_and_b32_e32 v18, 0x7c0000, v2
	v_bfe_u32 v25, v2, 16, 2
	v_cmp_ne_u32_e32 vcc, s51, v18
                                        ; implicit-def: $vgpr18
	s_and_saveexec_b64 s[74:75], vcc
	s_xor_b64 s[74:75], exec, s[74:75]
	s_cbranch_execz .LBB0_688
; %bb.687:                              ;   in Loop: Header=BB0_444 Depth=2
	v_ffbh_u32_e32 v30, v25
	v_min_u32_e32 v33, 32, v30
	v_subrev_u32_e32 v30, 29, v33
	v_lshlrev_b64 v[30:31], v30, v[0:1]
	v_bfe_u32 v18, v2, 18, 5
	v_sub_u32_e32 v0, 30, v33
	v_and_b32_e32 v30, 3, v30
	v_cmp_eq_u32_e32 vcc, 0, v18
	v_cndmask_b32_e32 v0, v18, v0, vcc
	v_cndmask_b32_e32 v18, v25, v30, vcc
	v_lshlrev_b32_e32 v25, 8, v2
	v_and_b32_e32 v25, 0x80000000, v25
	v_lshl_add_u32 v0, v0, 23, v25
	v_lshl_or_b32 v0, v18, 21, v0
	v_add_u32_e32 v18, 0x38000000, v0
                                        ; implicit-def: $vgpr25
                                        ; implicit-def: $vgpr0
.LBB0_688:                              ;   in Loop: Header=BB0_444 Depth=2
	s_andn2_saveexec_b64 s[74:75], s[74:75]
; %bb.689:                              ;   in Loop: Header=BB0_444 Depth=2
	v_cmp_gt_i16_sdwa vcc, sext(v0), v27 src0_sel:BYTE_0 src1_sel:DWORD
	v_cndmask_b32_e32 v0, v5, v8, vcc
	v_cmp_eq_u32_e32 vcc, 0, v25
	v_cndmask_b32_e32 v18, v9, v0, vcc
; %bb.690:                              ;   in Loop: Header=BB0_444 Depth=2
	s_or_b64 exec, exec, s[74:75]
.LBB0_691:                              ;   in Loop: Header=BB0_444 Depth=2
	s_or_b64 exec, exec, s[72:73]
.LBB0_692:                              ;   in Loop: Header=BB0_444 Depth=2
	s_or_b64 exec, exec, s[16:17]
	v_mul_f32_e32 v30, v19, v18
	v_and_b32_e32 v33, 0x7f800000, v30
	v_mov_b32_e32 v34, v3
	v_cmp_ne_u64_e32 vcc, s[56:57], v[33:34]
	v_and_b32_e32 v18, 0x7fffff, v30
	v_mov_b32_e32 v19, v3
                                        ; implicit-def: $vgpr25
	s_and_saveexec_b64 s[16:17], vcc
	s_xor_b64 s[72:73], exec, s[16:17]
	s_cbranch_execz .LBB0_706
; %bb.693:                              ;   in Loop: Header=BB0_444 Depth=2
	v_and_b32_e32 v33, 0x7fffffff, v30
	v_mov_b32_e32 v34, v3
	v_cmp_gt_u64_e32 vcc, s[58:59], v[33:34]
	v_and_b32_sdwa v0, v30, s48 dst_sel:DWORD dst_unused:UNUSED_PAD src0_sel:BYTE_3 src1_sel:DWORD
                                        ; implicit-def: $vgpr25
	s_and_saveexec_b64 s[16:17], vcc
	s_xor_b64 s[74:75], exec, s[16:17]
	s_cbranch_execz .LBB0_703
; %bb.694:                              ;   in Loop: Header=BB0_444 Depth=2
	v_mov_b32_e32 v25, 0
	v_cmp_ne_u32_e32 vcc, 0, v30
	s_and_saveexec_b64 s[76:77], vcc
	s_cbranch_execz .LBB0_702
; %bb.695:                              ;   in Loop: Header=BB0_444 Depth=2
	v_bfe_u32 v25, v30, 23, 8
	v_cmp_gt_u32_e64 s[16:17], s49, v25
	v_sub_u32_e32 v30, 0x71, v25
	v_cmp_eq_u32_e32 vcc, 0, v25
	v_cndmask_b32_e64 v30, 0, v30, s[16:17]
	v_cndmask_b32_e32 v33, v30, v40, vcc
	v_or_b32_e32 v31, 0x800000, v18
	v_add_u32_e32 v30, 21, v33
	v_cndmask_b32_e32 v18, v31, v18, vcc
	v_lshlrev_b64 v[30:31], v30, -1
	v_add_u32_e32 v34, 20, v33
	v_bfi_b32 v30, v30, 0, v18
	v_lshlrev_b64 v[34:35], v34, 1
	v_lshrrev_b64 v[18:19], v33, v[18:19]
	v_bfi_b32 v31, v31, 0, 0
	v_cmp_eq_u64_e64 s[16:17], v[30:31], v[34:35]
	v_mov_b32_e32 v31, v19
	v_mov_b32_e32 v30, v18
	s_and_saveexec_b64 s[78:79], s[16:17]
; %bb.696:                              ;   in Loop: Header=BB0_444 Depth=2
	v_bfe_u32 v19, v18, 21, 1
	v_add_co_u32_e64 v19, s[16:17], v18, v19
	v_add_co_u32_e64 v30, s[16:17], -1, v19
; %bb.697:                              ;   in Loop: Header=BB0_444 Depth=2
	s_or_b64 exec, exec, s[78:79]
	v_add_u32_e32 v19, 0xffffff81, v25
	v_cndmask_b32_e32 v19, v19, v41, vcc
	v_lshrrev_b32_e32 v25, 23, v18
	v_add3_u32 v33, v33, v19, v25
	v_add_u32_e32 v31, 14, v33
	v_and_b32_e32 v19, 0x1fffff, v30
	v_add_u32_e32 v18, v19, v18
	v_mov_b32_e32 v19, v3
	v_cmp_ne_u32_e32 vcc, 0, v31
                                        ; implicit-def: $vgpr25
	s_and_saveexec_b64 s[16:17], vcc
	s_xor_b64 s[16:17], exec, s[16:17]
; %bb.698:                              ;   in Loop: Header=BB0_444 Depth=2
	v_cmp_lt_u64_e32 vcc, s[60:61], v[18:19]
	v_add_u32_e32 v25, 15, v33
	v_cndmask_b32_e64 v30, 0, 1, vcc
	v_cndmask_b32_e32 v25, v31, v25, vcc
	v_lshrrev_b64 v[18:19], v30, v[18:19]
; %bb.699:                              ;   in Loop: Header=BB0_444 Depth=2
	s_andn2_saveexec_b64 s[16:17], s[16:17]
; %bb.700:                              ;   in Loop: Header=BB0_444 Depth=2
	v_bfe_u32 v25, v18, 23, 1
; %bb.701:                              ;   in Loop: Header=BB0_444 Depth=2
	s_or_b64 exec, exec, s[16:17]
	v_lshrrev_b64 v[18:19], 21, v[18:19]
	v_cmp_gt_i32_e32 vcc, 32, v25
	v_cndmask_b32_e32 v19, 0, v19, vcc
	v_cndmask_b32_e32 v18, 3, v18, vcc
	v_cmp_eq_u64_e64 s[16:17], 0, v[18:19]
	v_min_i32_e32 v19, 31, v25
	v_lshlrev_b32_e32 v19, 2, v19
	v_cmp_eq_u32_e32 vcc, 0, v25
	v_and_b32_e32 v19, 0xfc, v19
	v_and_or_b32 v18, v18, 3, v19
	s_and_b64 s[16:17], vcc, s[16:17]
	v_cndmask_b32_e64 v18, v18, 0, s[16:17]
	v_or_b32_e32 v25, v18, v0
.LBB0_702:                              ;   in Loop: Header=BB0_444 Depth=2
	s_or_b64 exec, exec, s[76:77]
                                        ; implicit-def: $vgpr0
.LBB0_703:                              ;   in Loop: Header=BB0_444 Depth=2
	s_andn2_saveexec_b64 s[16:17], s[74:75]
; %bb.704:                              ;   in Loop: Header=BB0_444 Depth=2
	v_or_b32_e32 v25, 0x7b, v0
; %bb.705:                              ;   in Loop: Header=BB0_444 Depth=2
	s_or_b64 exec, exec, s[16:17]
                                        ; implicit-def: $vgpr30
                                        ; implicit-def: $vgpr18_vgpr19
.LBB0_706:                              ;   in Loop: Header=BB0_444 Depth=2
	s_andn2_saveexec_b64 s[16:17], s[72:73]
	s_cbranch_execz .LBB0_712
; %bb.707:                              ;   in Loop: Header=BB0_444 Depth=2
	v_cmp_ne_u64_e32 vcc, 0, v[18:19]
                                        ; implicit-def: $vgpr25
	s_and_saveexec_b64 s[72:73], vcc
	s_xor_b64 s[72:73], exec, s[72:73]
; %bb.708:                              ;   in Loop: Header=BB0_444 Depth=2
	v_or_b32_sdwa v25, v30, s50 dst_sel:DWORD dst_unused:UNUSED_PAD src0_sel:BYTE_3 src1_sel:DWORD
                                        ; implicit-def: $vgpr30
; %bb.709:                              ;   in Loop: Header=BB0_444 Depth=2
	s_andn2_saveexec_b64 s[72:73], s[72:73]
; %bb.710:                              ;   in Loop: Header=BB0_444 Depth=2
	v_cmp_lt_i32_e32 vcc, -1, v30
	v_cndmask_b32_e32 v25, v12, v50, vcc
; %bb.711:                              ;   in Loop: Header=BB0_444 Depth=2
	s_or_b64 exec, exec, s[72:73]
.LBB0_712:                              ;   in Loop: Header=BB0_444 Depth=2
	s_or_b64 exec, exec, s[16:17]
	v_mov_b32_e32 v19, v3
	v_cmp_lt_u64_e32 vcc, s[46:47], v[19:20]
	v_mov_b32_e32 v18, 0
	v_mov_b32_e32 v30, 0
	s_and_saveexec_b64 s[16:17], vcc
	s_cbranch_execz .LBB0_720
; %bb.713:                              ;   in Loop: Header=BB0_444 Depth=2
	v_lshrrev_b32_e32 v0, 24, v20
	v_cmp_ne_u32_e32 vcc, s48, v0
	v_bfrev_b32_e32 v30, 1
	s_and_saveexec_b64 s[72:73], vcc
	s_cbranch_execz .LBB0_719
; %bb.714:                              ;   in Loop: Header=BB0_444 Depth=2
	v_and_b32_e32 v30, 0x7c000000, v20
	v_bfe_u32 v31, v20, 24, 2
	v_cmp_ne_u32_e32 vcc, s52, v30
                                        ; implicit-def: $vgpr30
	s_and_saveexec_b64 s[74:75], vcc
	s_xor_b64 s[74:75], exec, s[74:75]
	s_cbranch_execz .LBB0_716
; %bb.715:                              ;   in Loop: Header=BB0_444 Depth=2
	v_ffbh_u32_e32 v30, v31
	v_min_u32_e32 v30, 32, v30
	v_subrev_u32_e32 v33, 29, v30
	v_bfe_u32 v19, v20, 26, 5
	v_lshlrev_b64 v[33:34], v33, v[0:1]
	v_sub_u32_e32 v0, 30, v30
	v_cmp_eq_u32_e32 vcc, 0, v19
	v_and_b32_e32 v30, 3, v33
	v_cndmask_b32_e32 v0, v19, v0, vcc
	v_and_b32_e32 v20, 0x80000000, v20
	v_cndmask_b32_e32 v19, v31, v30, vcc
	v_lshl_add_u32 v0, v0, 23, v20
	v_lshl_or_b32 v0, v19, 21, v0
	v_add_u32_e32 v30, 0x38000000, v0
                                        ; implicit-def: $vgpr31
                                        ; implicit-def: $vgpr19_vgpr20
.LBB0_716:                              ;   in Loop: Header=BB0_444 Depth=2
	s_andn2_saveexec_b64 s[74:75], s[74:75]
; %bb.717:                              ;   in Loop: Header=BB0_444 Depth=2
	v_cmp_lt_i64_e32 vcc, -1, v[19:20]
	v_cndmask_b32_e32 v0, v5, v8, vcc
	v_cmp_eq_u32_e32 vcc, 0, v31
	v_cndmask_b32_e32 v30, v9, v0, vcc
; %bb.718:                              ;   in Loop: Header=BB0_444 Depth=2
	s_or_b64 exec, exec, s[74:75]
.LBB0_719:                              ;   in Loop: Header=BB0_444 Depth=2
	s_or_b64 exec, exec, s[72:73]
.LBB0_720:                              ;   in Loop: Header=BB0_444 Depth=2
	s_or_b64 exec, exec, s[16:17]
	v_cmp_lt_u32_e32 vcc, s47, v2
	s_and_saveexec_b64 s[16:17], vcc
	s_cbranch_execz .LBB0_728
; %bb.721:                              ;   in Loop: Header=BB0_444 Depth=2
	v_lshrrev_b32_e32 v0, 24, v2
	v_cmp_ne_u32_e32 vcc, s48, v0
	v_bfrev_b32_e32 v18, 1
	s_and_saveexec_b64 s[72:73], vcc
	s_cbranch_execz .LBB0_727
; %bb.722:                              ;   in Loop: Header=BB0_444 Depth=2
	v_and_b32_e32 v18, 0x7c000000, v2
	v_bfe_u32 v19, v2, 24, 2
	v_cmp_ne_u32_e32 vcc, s52, v18
                                        ; implicit-def: $vgpr18
	s_and_saveexec_b64 s[74:75], vcc
	s_xor_b64 s[74:75], exec, s[74:75]
	s_cbranch_execz .LBB0_724
; %bb.723:                              ;   in Loop: Header=BB0_444 Depth=2
	v_ffbh_u32_e32 v20, v19
	v_min_u32_e32 v20, 32, v20
	v_subrev_u32_e32 v31, 29, v20
	v_bfe_u32 v18, v2, 26, 5
	v_lshlrev_b64 v[33:34], v31, v[0:1]
	v_sub_u32_e32 v0, 30, v20
	v_cmp_eq_u32_e32 vcc, 0, v18
	v_and_b32_e32 v20, 3, v33
	v_cndmask_b32_e32 v0, v18, v0, vcc
	v_and_b32_e32 v2, 0x80000000, v2
	v_cndmask_b32_e32 v18, v19, v20, vcc
	v_lshl_add_u32 v0, v0, 23, v2
	v_lshl_or_b32 v0, v18, 21, v0
	v_add_u32_e32 v18, 0x38000000, v0
                                        ; implicit-def: $vgpr19
.LBB0_724:                              ;   in Loop: Header=BB0_444 Depth=2
	s_andn2_saveexec_b64 s[74:75], s[74:75]
; %bb.725:                              ;   in Loop: Header=BB0_444 Depth=2
	v_cmp_lt_i32_e32 vcc, -1, v2
	v_cndmask_b32_e32 v0, v5, v8, vcc
	v_cmp_eq_u32_e32 vcc, 0, v19
	v_cndmask_b32_e32 v18, v9, v0, vcc
; %bb.726:                              ;   in Loop: Header=BB0_444 Depth=2
	s_or_b64 exec, exec, s[74:75]
.LBB0_727:                              ;   in Loop: Header=BB0_444 Depth=2
	s_or_b64 exec, exec, s[72:73]
.LBB0_728:                              ;   in Loop: Header=BB0_444 Depth=2
	s_or_b64 exec, exec, s[16:17]
	v_mul_f32_e32 v18, v30, v18
	v_and_b32_e32 v19, 0x7f800000, v18
	v_mov_b32_e32 v20, v3
	v_cmp_ne_u64_e32 vcc, s[56:57], v[19:20]
	v_and_b32_e32 v2, 0x7fffff, v18
                                        ; implicit-def: $vgpr19
	s_and_saveexec_b64 s[16:17], vcc
	s_xor_b64 s[72:73], exec, s[16:17]
	s_cbranch_execz .LBB0_742
; %bb.729:                              ;   in Loop: Header=BB0_444 Depth=2
	v_and_b32_e32 v19, 0x7fffffff, v18
	v_mov_b32_e32 v20, v3
	v_cmp_gt_u64_e32 vcc, s[58:59], v[19:20]
	v_and_b32_sdwa v0, v18, s48 dst_sel:DWORD dst_unused:UNUSED_PAD src0_sel:BYTE_3 src1_sel:DWORD
                                        ; implicit-def: $vgpr19
	s_and_saveexec_b64 s[16:17], vcc
	s_xor_b64 s[74:75], exec, s[16:17]
	s_cbranch_execz .LBB0_739
; %bb.730:                              ;   in Loop: Header=BB0_444 Depth=2
	v_mov_b32_e32 v19, 0
	v_cmp_ne_u32_e32 vcc, 0, v18
	s_and_saveexec_b64 s[76:77], vcc
	s_cbranch_execz .LBB0_738
; %bb.731:                              ;   in Loop: Header=BB0_444 Depth=2
	v_bfe_u32 v30, v18, 23, 8
	v_cmp_gt_u32_e64 s[16:17], s49, v30
	v_sub_u32_e32 v18, 0x71, v30
	v_cmp_eq_u32_e32 vcc, 0, v30
	v_cndmask_b32_e64 v18, 0, v18, s[16:17]
	v_cndmask_b32_e32 v31, v18, v40, vcc
	v_or_b32_e32 v19, 0x800000, v2
	v_add_u32_e32 v18, 21, v31
	v_cndmask_b32_e32 v2, v19, v2, vcc
	v_lshlrev_b64 v[18:19], v18, -1
	v_add_u32_e32 v20, 20, v31
	v_lshlrev_b64 v[33:34], v20, 1
	v_bfi_b32 v19, v19, 0, 0
	v_bfi_b32 v18, v18, 0, v2
	v_cmp_eq_u64_e64 s[16:17], v[18:19], v[33:34]
	v_lshrrev_b64 v[18:19], v31, v[2:3]
	v_mov_b32_e32 v20, v19
	v_mov_b32_e32 v19, v18
	s_and_saveexec_b64 s[78:79], s[16:17]
; %bb.732:                              ;   in Loop: Header=BB0_444 Depth=2
	v_bfe_u32 v2, v18, 21, 1
	v_add_co_u32_e64 v2, s[16:17], v18, v2
	v_add_co_u32_e64 v19, s[16:17], -1, v2
; %bb.733:                              ;   in Loop: Header=BB0_444 Depth=2
	s_or_b64 exec, exec, s[78:79]
	v_add_u32_e32 v2, 0xffffff81, v30
	v_cndmask_b32_e32 v2, v2, v41, vcc
	v_lshrrev_b32_e32 v20, 23, v18
	v_add3_u32 v31, v31, v2, v20
	v_add_u32_e32 v30, 14, v31
	v_and_b32_e32 v2, 0x1fffff, v19
	v_add_u32_e32 v2, v2, v18
	v_cmp_ne_u32_e32 vcc, 0, v30
                                        ; implicit-def: $vgpr18_vgpr19
                                        ; implicit-def: $vgpr20
	s_and_saveexec_b64 s[16:17], vcc
	s_xor_b64 s[16:17], exec, s[16:17]
; %bb.734:                              ;   in Loop: Header=BB0_444 Depth=2
	v_cmp_lt_u64_e32 vcc, s[60:61], v[2:3]
	v_add_u32_e32 v18, 15, v31
	v_cndmask_b32_e32 v20, v30, v18, vcc
	v_cndmask_b32_e64 v18, 0, 1, vcc
	v_lshrrev_b64 v[18:19], v18, v[2:3]
; %bb.735:                              ;   in Loop: Header=BB0_444 Depth=2
	s_andn2_saveexec_b64 s[16:17], s[16:17]
; %bb.736:                              ;   in Loop: Header=BB0_444 Depth=2
	v_mov_b32_e32 v19, v3
	v_bfe_u32 v20, v2, 23, 1
	v_mov_b32_e32 v18, v2
; %bb.737:                              ;   in Loop: Header=BB0_444 Depth=2
	s_or_b64 exec, exec, s[16:17]
	v_lshrrev_b64 v[18:19], 21, v[18:19]
	v_cmp_gt_i32_e32 vcc, 32, v20
	v_cndmask_b32_e32 v19, 0, v19, vcc
	v_cndmask_b32_e32 v18, 3, v18, vcc
	v_min_i32_e32 v2, 31, v20
	v_cmp_eq_u64_e64 s[16:17], 0, v[18:19]
	v_lshlrev_b32_e32 v2, 2, v2
	v_cmp_eq_u32_e32 vcc, 0, v20
	v_and_b32_e32 v2, 0xfc, v2
	v_and_or_b32 v2, v18, 3, v2
	s_and_b64 s[16:17], vcc, s[16:17]
	v_cndmask_b32_e64 v2, v2, 0, s[16:17]
	v_or_b32_e32 v19, v2, v0
.LBB0_738:                              ;   in Loop: Header=BB0_444 Depth=2
	s_or_b64 exec, exec, s[76:77]
                                        ; implicit-def: $vgpr0
.LBB0_739:                              ;   in Loop: Header=BB0_444 Depth=2
	s_andn2_saveexec_b64 s[16:17], s[74:75]
; %bb.740:                              ;   in Loop: Header=BB0_444 Depth=2
	v_or_b32_e32 v19, 0x7b, v0
; %bb.741:                              ;   in Loop: Header=BB0_444 Depth=2
	s_or_b64 exec, exec, s[16:17]
                                        ; implicit-def: $vgpr18
.LBB0_742:                              ;   in Loop: Header=BB0_444 Depth=2
	s_andn2_saveexec_b64 s[16:17], s[72:73]
	s_cbranch_execz .LBB0_748
; %bb.743:                              ;   in Loop: Header=BB0_444 Depth=2
	v_cmp_ne_u64_e32 vcc, 0, v[2:3]
                                        ; implicit-def: $vgpr19
	s_and_saveexec_b64 s[72:73], vcc
	s_xor_b64 s[72:73], exec, s[72:73]
; %bb.744:                              ;   in Loop: Header=BB0_444 Depth=2
	v_or_b32_sdwa v19, v18, s50 dst_sel:DWORD dst_unused:UNUSED_PAD src0_sel:BYTE_3 src1_sel:DWORD
                                        ; implicit-def: $vgpr18
; %bb.745:                              ;   in Loop: Header=BB0_444 Depth=2
	s_andn2_saveexec_b64 s[72:73], s[72:73]
; %bb.746:                              ;   in Loop: Header=BB0_444 Depth=2
	v_cmp_lt_i32_e32 vcc, -1, v18
	v_cndmask_b32_e32 v19, v12, v50, vcc
; %bb.747:                              ;   in Loop: Header=BB0_444 Depth=2
	s_or_b64 exec, exec, s[72:73]
.LBB0_748:                              ;   in Loop: Header=BB0_444 Depth=2
	s_or_b64 exec, exec, s[16:17]
	v_lshlrev_b32_e32 v0, 16, v32
	v_lshlrev_b32_e32 v2, 24, v4
	v_lshl_or_b32 v0, v6, 8, v0
	v_or3_b32 v18, v0, v2, v26
	v_lshlrev_b32_e32 v2, 16, v25
	v_lshlrev_b32_e32 v0, 24, v19
	v_lshl_or_b32 v2, v24, 8, v2
	v_cmp_lt_u32_e32 vcc, 7, v7
	v_or3_b32 v19, v2, v0, v21
	s_cmp_lg_u64 vcc, exec
	s_mov_b64 s[16:17], -1
	s_cbranch_scc0 .LBB0_758
; %bb.749:                              ;   in Loop: Header=BB0_444 Depth=2
	v_cmp_ne_u32_e64 s[16:17], 1, v7
	flat_store_byte v[56:57], v26
	s_and_saveexec_b64 s[72:73], s[16:17]
	s_cbranch_execnz .LBB0_760
; %bb.750:                              ;   in Loop: Header=BB0_444 Depth=2
	s_or_b64 exec, exec, s[72:73]
	v_cmp_lt_u32_e64 s[16:17], 2, v7
	s_and_saveexec_b64 s[72:73], s[16:17]
	s_cbranch_execnz .LBB0_761
.LBB0_751:                              ;   in Loop: Header=BB0_444 Depth=2
	s_or_b64 exec, exec, s[72:73]
	v_cmp_lt_u32_e64 s[16:17], 3, v7
	s_and_saveexec_b64 s[72:73], s[16:17]
	s_cbranch_execnz .LBB0_762
.LBB0_752:                              ;   in Loop: Header=BB0_444 Depth=2
	s_or_b64 exec, exec, s[72:73]
	v_cmp_lt_u32_e64 s[16:17], 4, v7
	s_and_saveexec_b64 s[72:73], s[16:17]
	s_cbranch_execnz .LBB0_763
.LBB0_753:                              ;   in Loop: Header=BB0_444 Depth=2
	s_or_b64 exec, exec, s[72:73]
	v_cmp_lt_u32_e64 s[16:17], 5, v7
	s_and_saveexec_b64 s[72:73], s[16:17]
	s_cbranch_execnz .LBB0_764
.LBB0_754:                              ;   in Loop: Header=BB0_444 Depth=2
	s_or_b64 exec, exec, s[72:73]
	v_cmp_lt_u32_e64 s[16:17], 6, v7
	s_and_saveexec_b64 s[72:73], s[16:17]
	s_cbranch_execnz .LBB0_765
.LBB0_755:                              ;   in Loop: Header=BB0_444 Depth=2
	s_or_b64 exec, exec, s[72:73]
	s_and_saveexec_b64 s[16:17], vcc
	s_cbranch_execz .LBB0_757
.LBB0_756:                              ;   in Loop: Header=BB0_444 Depth=2
	v_lshrrev_b32_e32 v0, 24, v19
	flat_store_byte v[56:57], v0 offset:7
.LBB0_757:                              ;   in Loop: Header=BB0_444 Depth=2
	s_or_b64 exec, exec, s[16:17]
	s_mov_b64 s[16:17], 0
.LBB0_758:                              ;   in Loop: Header=BB0_444 Depth=2
	s_and_b64 vcc, exec, s[16:17]
	s_cbranch_vccz .LBB0_443
; %bb.759:                              ;   in Loop: Header=BB0_444 Depth=2
	global_store_dwordx2 v[56:57], v[18:19], off
	s_branch .LBB0_443
.LBB0_760:                              ;   in Loop: Header=BB0_444 Depth=2
	v_lshrrev_b32_e32 v0, 8, v18
	flat_store_byte v[56:57], v0 offset:1
	s_or_b64 exec, exec, s[72:73]
	v_cmp_lt_u32_e64 s[16:17], 2, v7
	s_and_saveexec_b64 s[72:73], s[16:17]
	s_cbranch_execz .LBB0_751
.LBB0_761:                              ;   in Loop: Header=BB0_444 Depth=2
	flat_store_byte_d16_hi v[56:57], v18 offset:2
	s_or_b64 exec, exec, s[72:73]
	v_cmp_lt_u32_e64 s[16:17], 3, v7
	s_and_saveexec_b64 s[72:73], s[16:17]
	s_cbranch_execz .LBB0_752
.LBB0_762:                              ;   in Loop: Header=BB0_444 Depth=2
	v_lshrrev_b32_e32 v0, 24, v18
	flat_store_byte v[56:57], v0 offset:3
	s_or_b64 exec, exec, s[72:73]
	v_cmp_lt_u32_e64 s[16:17], 4, v7
	s_and_saveexec_b64 s[72:73], s[16:17]
	s_cbranch_execz .LBB0_753
.LBB0_763:                              ;   in Loop: Header=BB0_444 Depth=2
	flat_store_byte v[56:57], v21 offset:4
	s_or_b64 exec, exec, s[72:73]
	v_cmp_lt_u32_e64 s[16:17], 5, v7
	s_and_saveexec_b64 s[72:73], s[16:17]
	s_cbranch_execz .LBB0_754
.LBB0_764:                              ;   in Loop: Header=BB0_444 Depth=2
	v_lshrrev_b32_e32 v0, 8, v19
	flat_store_byte v[56:57], v0 offset:5
	s_or_b64 exec, exec, s[72:73]
	v_cmp_lt_u32_e64 s[16:17], 6, v7
	s_and_saveexec_b64 s[72:73], s[16:17]
	s_cbranch_execz .LBB0_755
.LBB0_765:                              ;   in Loop: Header=BB0_444 Depth=2
	flat_store_byte_d16_hi v[56:57], v19 offset:6
	s_or_b64 exec, exec, s[72:73]
	s_and_saveexec_b64 s[16:17], vcc
	s_cbranch_execnz .LBB0_756
	s_branch .LBB0_757
.LBB0_766:                              ;   in Loop: Header=BB0_24 Depth=1
	s_or_b64 exec, exec, s[62:63]
.LBB0_767:                              ;   in Loop: Header=BB0_24 Depth=1
	s_or_b64 exec, exec, s[18:19]
	buffer_load_dword v18, off, s[0:3], s32 offset:148 ; 4-byte Folded Reload
	buffer_load_dword v19, off, s[0:3], s32 offset:152 ; 4-byte Folded Reload
	;; [unrolled: 1-line block ×8, first 2 shown]
	s_waitcnt vmcnt(0)
	v_mov_b32_e32 v10, v20
	v_mov_b32_e32 v11, v21
	s_and_saveexec_b64 s[16:17], s[10:11]
	s_cbranch_execz .LBB0_786
; %bb.768:                              ;   in Loop: Header=BB0_24 Depth=1
	s_and_saveexec_b64 s[18:19], s[40:41]
	s_xor_b64 s[18:19], exec, s[18:19]
	s_cbranch_execz .LBB0_783
; %bb.769:                              ;   in Loop: Header=BB0_24 Depth=1
	s_and_saveexec_b64 s[62:63], s[12:13]
	s_cbranch_execz .LBB0_782
; %bb.770:                              ;   in Loop: Header=BB0_24 Depth=1
	s_mov_b64 s[74:75], exec
	s_waitcnt lgkmcnt(0)
	v_mbcnt_lo_u32_b32 v0, s74, 0
	v_mbcnt_hi_u32_b32 v0, s75, v0
	v_cmp_eq_u32_e32 vcc, 0, v0
	buffer_wbinvl1_vol
	s_and_saveexec_b64 s[72:73], vcc
	s_cbranch_execz .LBB0_772
; %bb.771:                              ;   in Loop: Header=BB0_24 Depth=1
	s_bcnt1_i32_b64 s26, s[74:75]
	v_mov_b32_e32 v2, s26
	ds_add_u64 v0, v[2:3]
	s_trap 2
.LBB0_772:                              ;   in Loop: Header=BB0_24 Depth=1
	s_or_b64 exec, exec, s[72:73]
	s_trap 2
	ds_read_b64 v[6:7], v0
	s_waitcnt lgkmcnt(0)
	buffer_load_dword v0, off, s[0:3], s32 offset:124 ; 4-byte Folded Reload
	s_waitcnt vmcnt(0)
	v_add_co_u32_e32 v42, vcc, v42, v0
	v_addc_co_u32_e32 v43, vcc, 0, v43, vcc
	v_cmp_lt_u64_e32 vcc, v[6:7], v[42:43]
	s_and_saveexec_b64 s[72:73], vcc
	s_cbranch_execz .LBB0_781
; %bb.773:                              ;   in Loop: Header=BB0_24 Depth=1
	s_mov_b32 s26, 0
	s_mov_b64 s[74:75], 0
                                        ; implicit-def: $sgpr76_sgpr77
                                        ; implicit-def: $sgpr78_sgpr79
	s_branch .LBB0_775
.LBB0_774:                              ;   in Loop: Header=BB0_775 Depth=2
	s_or_b64 exec, exec, s[90:91]
	s_and_b64 s[88:89], exec, s[92:93]
	s_or_b64 s[74:75], s[88:89], s[74:75]
	s_andn2_b64 s[76:77], s[76:77], exec
	s_and_b64 s[88:89], s[78:79], exec
	s_or_b64 s[76:77], s[76:77], s[88:89]
	s_andn2_b64 exec, exec, s[74:75]
	s_cbranch_execz .LBB0_779
.LBB0_775:                              ;   Parent Loop BB0_24 Depth=1
                                        ; =>  This Inner Loop Header: Depth=2
	s_add_i32 s26, s26, 1
	s_cmpk_lg_i32 s26, 0x2710
	s_cselect_b64 s[88:89], -1, 0
	s_and_b64 vcc, exec, s[88:89]
	s_cbranch_vccz .LBB0_777
; %bb.776:                              ;   in Loop: Header=BB0_775 Depth=2
	s_mov_b64 s[92:93], -1
	s_or_b64 s[78:79], s[78:79], exec
	s_and_saveexec_b64 s[90:91], s[88:89]
	s_cbranch_execz .LBB0_774
	s_branch .LBB0_778
.LBB0_777:                              ;   in Loop: Header=BB0_775 Depth=2
	s_trap 2
	ds_read_b64 v[6:7], v0
	s_andn2_b64 s[88:89], s[88:89], exec
	s_mov_b32 s26, 0
	s_waitcnt lgkmcnt(0)
	flat_load_dword v0, v[6:7] glc
	s_waitcnt vmcnt(0) lgkmcnt(0)
	buffer_wbinvl1_vol
	v_cmp_eq_u32_e32 vcc, 0, v0
	s_and_b64 s[90:91], vcc, exec
	s_or_b64 s[88:89], s[88:89], s[90:91]
	s_mov_b64 s[92:93], -1
	s_or_b64 s[78:79], s[78:79], exec
	s_and_saveexec_b64 s[90:91], s[88:89]
	s_cbranch_execz .LBB0_774
.LBB0_778:                              ;   in Loop: Header=BB0_775 Depth=2
	s_sleep 1
	s_trap 2
	ds_read_b64 v[6:7], v0
	s_waitcnt lgkmcnt(0)
	s_andn2_b64 s[78:79], s[78:79], exec
	v_cmp_ge_u64_e32 vcc, v[6:7], v[42:43]
	s_orn2_b64 s[92:93], vcc, exec
	s_branch .LBB0_774
.LBB0_779:                              ;   in Loop: Header=BB0_24 Depth=1
	s_or_b64 exec, exec, s[74:75]
	s_and_saveexec_b64 s[74:75], s[76:77]
	s_xor_b64 s[74:75], exec, s[74:75]
	s_cbranch_execz .LBB0_781
; %bb.780:                              ;   in Loop: Header=BB0_24 Depth=1
	v_mov_b32_e32 v0, 1
	ds_write_b32 v0, v0
	s_trap 2
.LBB0_781:                              ;   in Loop: Header=BB0_24 Depth=1
	s_or_b64 exec, exec, s[72:73]
	;;#ASMSTART
	s_wakeup
	;;#ASMEND
.LBB0_782:                              ;   in Loop: Header=BB0_24 Depth=1
	s_or_b64 exec, exec, s[62:63]
.LBB0_783:                              ;   in Loop: Header=BB0_24 Depth=1
	s_andn2_saveexec_b64 s[18:19], s[18:19]
	s_cbranch_execz .LBB0_785
; %bb.784:                              ;   in Loop: Header=BB0_24 Depth=1
	s_waitcnt lgkmcnt(0)
	buffer_wbinvl1_vol
	s_barrier
.LBB0_785:                              ;   in Loop: Header=BB0_24 Depth=1
	s_or_b64 exec, exec, s[18:19]
.LBB0_786:                              ;   in Loop: Header=BB0_24 Depth=1
	s_or_b64 exec, exec, s[16:17]
	s_and_saveexec_b64 s[16:17], s[14:15]
	s_cbranch_execz .LBB0_23
; %bb.787:                              ;   in Loop: Header=BB0_24 Depth=1
	buffer_load_dword v6, off, s[0:3], s32 offset:96 ; 4-byte Folded Reload
	buffer_load_dword v7, off, s[0:3], s32 offset:100 ; 4-byte Folded Reload
	v_add_co_u32_e32 v48, vcc, 1, v48
	v_addc_co_u32_e32 v49, vcc, 0, v49, vcc
	s_waitcnt vmcnt(0)
	flat_store_dwordx2 v[6:7], v[48:49]
	s_branch .LBB0_23
.LBB0_788:
	s_or_b64 exec, exec, s[28:29]
	buffer_load_dword v31, off, s[0:3], s32 offset:240 ; 4-byte Folded Reload
	buffer_load_dword v12, off, s[0:3], s32 offset:244 ; 4-byte Folded Reload
	;; [unrolled: 1-line block ×6, first 2 shown]
	s_or_b64 exec, exec, s[24:25]
	s_and_saveexec_b64 s[6:7], s[22:23]
	s_cbranch_execz .LBB0_20
.LBB0_789:
	s_waitcnt vmcnt(0) lgkmcnt(0)
	flat_store_dwordx2 v[26:27], v[48:49] offset:104
	s_or_b64 exec, exec, s[6:7]
	s_and_saveexec_b64 s[6:7], s[4:5]
	s_cbranch_execz .LBB0_21
.LBB0_790:
	s_waitcnt vmcnt(0) lgkmcnt(0)
	flat_store_dwordx2 v[24:25], v[16:17] offset:104
	s_or_b64 exec, exec, s[6:7]
	v_cmp_ne_u32_e32 vcc, 64, v1
	s_and_saveexec_b64 s[4:5], vcc
	s_cbranch_execz .LBB0_808
.LBB0_791:
	s_waitcnt vmcnt(0)
	v_cmp_ne_u32_sdwa s[6:7], v1, v12 src0_sel:DWORD src1_sel:WORD_0
	s_and_saveexec_b64 s[8:9], s[6:7]
	s_xor_b64 s[6:7], exec, s[8:9]
	s_cbranch_execz .LBB0_806
; %bb.792:
	s_waitcnt lgkmcnt(0)
	v_and_b32_e32 v0, 63, v31
	v_cmp_eq_u32_e32 vcc, 0, v0
	s_and_saveexec_b64 s[8:9], vcc
	s_cbranch_execz .LBB0_805
; %bb.793:
	s_mov_b64 s[12:13], exec
	v_mbcnt_lo_u32_b32 v0, s12, 0
	v_mbcnt_hi_u32_b32 v0, s13, v0
	v_cmp_eq_u32_e32 vcc, 0, v0
	buffer_wbinvl1_vol
	s_and_saveexec_b64 s[10:11], vcc
	s_cbranch_execz .LBB0_795
; %bb.794:
	s_bcnt1_i32_b64 s12, s[12:13]
	v_mov_b32_e32 v2, s12
	v_mov_b32_e32 v3, 0
	ds_add_u64 v0, v[2:3]
	s_trap 2
.LBB0_795:
	s_or_b64 exec, exec, s[10:11]
	v_lshrrev_b32_e32 v0, 6, v1
	s_trap 2
	ds_read_b64 v[2:3], v0
	s_waitcnt lgkmcnt(0)
	v_add_co_u32_e32 v0, vcc, v42, v0
	v_addc_co_u32_e32 v1, vcc, 0, v43, vcc
	v_cmp_lt_u64_e32 vcc, v[2:3], v[0:1]
	s_and_saveexec_b64 s[10:11], vcc
	s_cbranch_execz .LBB0_804
; %bb.796:
	s_mov_b32 s24, 0
	s_mov_b64 s[12:13], 0
                                        ; implicit-def: $sgpr14_sgpr15
                                        ; implicit-def: $sgpr16_sgpr17
	s_branch .LBB0_798
.LBB0_797:                              ;   in Loop: Header=BB0_798 Depth=1
	s_or_b64 exec, exec, s[20:21]
	s_and_b64 s[18:19], exec, s[22:23]
	s_or_b64 s[12:13], s[18:19], s[12:13]
	s_andn2_b64 s[14:15], s[14:15], exec
	s_and_b64 s[18:19], s[16:17], exec
	s_or_b64 s[14:15], s[14:15], s[18:19]
	s_andn2_b64 exec, exec, s[12:13]
	s_cbranch_execz .LBB0_802
.LBB0_798:                              ; =>This Inner Loop Header: Depth=1
	s_add_i32 s24, s24, 1
	s_cmpk_lg_i32 s24, 0x2710
	s_cselect_b64 s[18:19], -1, 0
	s_and_b64 vcc, exec, s[18:19]
	s_cbranch_vccz .LBB0_800
; %bb.799:                              ;   in Loop: Header=BB0_798 Depth=1
	s_mov_b64 s[22:23], -1
	s_or_b64 s[16:17], s[16:17], exec
	s_and_saveexec_b64 s[20:21], s[18:19]
	s_cbranch_execz .LBB0_797
	s_branch .LBB0_801
.LBB0_800:                              ;   in Loop: Header=BB0_798 Depth=1
	s_trap 2
	ds_read_b64 v[2:3], v0
	s_andn2_b64 s[18:19], s[18:19], exec
	s_mov_b32 s24, 0
	s_waitcnt lgkmcnt(0)
	flat_load_dword v2, v[2:3] glc
	s_waitcnt vmcnt(0) lgkmcnt(0)
	buffer_wbinvl1_vol
	v_cmp_eq_u32_e32 vcc, 0, v2
	s_and_b64 s[20:21], vcc, exec
	s_or_b64 s[18:19], s[18:19], s[20:21]
	s_mov_b64 s[22:23], -1
	s_or_b64 s[16:17], s[16:17], exec
	s_and_saveexec_b64 s[20:21], s[18:19]
	s_cbranch_execz .LBB0_797
.LBB0_801:                              ;   in Loop: Header=BB0_798 Depth=1
	s_sleep 1
	s_trap 2
	ds_read_b64 v[2:3], v0
	s_waitcnt lgkmcnt(0)
	s_andn2_b64 s[16:17], s[16:17], exec
	v_cmp_ge_u64_e32 vcc, v[2:3], v[0:1]
	s_orn2_b64 s[22:23], vcc, exec
	s_branch .LBB0_797
.LBB0_802:
	s_or_b64 exec, exec, s[12:13]
	s_and_saveexec_b64 s[12:13], s[14:15]
	s_xor_b64 s[12:13], exec, s[12:13]
	s_cbranch_execz .LBB0_804
; %bb.803:
	v_mov_b32_e32 v0, 1
	ds_write_b32 v0, v0
	s_trap 2
.LBB0_804:
	s_or_b64 exec, exec, s[10:11]
	;;#ASMSTART
	s_wakeup
	;;#ASMEND
.LBB0_805:
	s_or_b64 exec, exec, s[8:9]
.LBB0_806:
	s_andn2_saveexec_b64 s[6:7], s[6:7]
	s_cbranch_execz .LBB0_808
; %bb.807:
	s_waitcnt lgkmcnt(0)
	buffer_wbinvl1_vol
	s_barrier
.LBB0_808:
	s_or_b64 exec, exec, s[4:5]
	buffer_load_dword v62, off, s[0:3], s32 ; 4-byte Folded Reload
	buffer_load_dword v61, off, s[0:3], s32 offset:4 ; 4-byte Folded Reload
	buffer_load_dword v60, off, s[0:3], s32 offset:8 ; 4-byte Folded Reload
	;; [unrolled: 1-line block ×14, first 2 shown]
	v_readlane_b32 s30, v63, 12
	v_readlane_b32 s31, v63, 13
	;; [unrolled: 1-line block ×14, first 2 shown]
	s_or_saveexec_b64 s[4:5], -1
	buffer_load_dword v63, off, s[0:3], s32 offset:264 ; 4-byte Folded Reload
	s_mov_b64 exec, s[4:5]
	s_waitcnt vmcnt(0) lgkmcnt(0)
	s_setpc_b64 s[30:31]
.Lfunc_end0:
	.size	_ZN12_GLOBAL__N_17runRingI14__hip_fp8_e5m28FuncProdIS1_E7ProtoLLLi0ELi1ELi0EEEviiP15ncclDevWorkColl, .Lfunc_end0-_ZN12_GLOBAL__N_17runRingI14__hip_fp8_e5m28FuncProdIS1_E7ProtoLLLi0ELi1ELi0EEEviiP15ncclDevWorkColl
                                        ; -- End function
	.set .L_ZN12_GLOBAL__N_17runRingI14__hip_fp8_e5m28FuncProdIS1_E7ProtoLLLi0ELi1ELi0EEEviiP15ncclDevWorkColl.num_vgpr, 64
	.set .L_ZN12_GLOBAL__N_17runRingI14__hip_fp8_e5m28FuncProdIS1_E7ProtoLLLi0ELi1ELi0EEEviiP15ncclDevWorkColl.num_agpr, 0
	.set .L_ZN12_GLOBAL__N_17runRingI14__hip_fp8_e5m28FuncProdIS1_E7ProtoLLLi0ELi1ELi0EEEviiP15ncclDevWorkColl.numbered_sgpr, 96
	.set .L_ZN12_GLOBAL__N_17runRingI14__hip_fp8_e5m28FuncProdIS1_E7ProtoLLLi0ELi1ELi0EEEviiP15ncclDevWorkColl.num_named_barrier, 0
	.set .L_ZN12_GLOBAL__N_17runRingI14__hip_fp8_e5m28FuncProdIS1_E7ProtoLLLi0ELi1ELi0EEEviiP15ncclDevWorkColl.private_seg_size, 272
	.set .L_ZN12_GLOBAL__N_17runRingI14__hip_fp8_e5m28FuncProdIS1_E7ProtoLLLi0ELi1ELi0EEEviiP15ncclDevWorkColl.uses_vcc, 1
	.set .L_ZN12_GLOBAL__N_17runRingI14__hip_fp8_e5m28FuncProdIS1_E7ProtoLLLi0ELi1ELi0EEEviiP15ncclDevWorkColl.uses_flat_scratch, 0
	.set .L_ZN12_GLOBAL__N_17runRingI14__hip_fp8_e5m28FuncProdIS1_E7ProtoLLLi0ELi1ELi0EEEviiP15ncclDevWorkColl.has_dyn_sized_stack, 0
	.set .L_ZN12_GLOBAL__N_17runRingI14__hip_fp8_e5m28FuncProdIS1_E7ProtoLLLi0ELi1ELi0EEEviiP15ncclDevWorkColl.has_recursion, 0
	.set .L_ZN12_GLOBAL__N_17runRingI14__hip_fp8_e5m28FuncProdIS1_E7ProtoLLLi0ELi1ELi0EEEviiP15ncclDevWorkColl.has_indirect_call, 0
	.section	.AMDGPU.csdata,"",@progbits
; Function info:
; codeLenInByte = 22908
; TotalNumSgprs: 100
; NumVgprs: 64
; ScratchSize: 272
; MemoryBound: 0
	.text
	.p2align	2                               ; -- Begin function _Z51ncclDevFunc_ReduceScatter_RING_LL_Prod_f8e5m2_0_0_1v
	.type	_Z51ncclDevFunc_ReduceScatter_RING_LL_Prod_f8e5m2_0_0_1v,@function
_Z51ncclDevFunc_ReduceScatter_RING_LL_Prod_f8e5m2_0_0_1v: ; @_Z51ncclDevFunc_ReduceScatter_RING_LL_Prod_f8e5m2_0_0_1v
; %bb.0:
	s_waitcnt vmcnt(0) expcnt(0) lgkmcnt(0)
	s_mov_b32 s4, s33
	s_mov_b32 s33, s32
	s_or_saveexec_b64 s[6:7], -1
	buffer_store_dword v43, off, s[0:3], s33 offset:16 ; 4-byte Folded Spill
	s_mov_b64 exec, s[6:7]
	v_writelane_b32 v43, s4, 20
	s_addk_i32 s32, 0x800
	buffer_store_dword v40, off, s[0:3], s33 offset:12 ; 4-byte Folded Spill
	buffer_store_dword v41, off, s[0:3], s33 offset:8 ; 4-byte Folded Spill
	;; [unrolled: 1-line block ×3, first 2 shown]
	buffer_store_dword v63, off, s[0:3], s33 ; 4-byte Folded Spill
	v_writelane_b32 v43, s34, 0
	v_writelane_b32 v43, s35, 1
	;; [unrolled: 1-line block ×20, first 2 shown]
	s_trap 2
	ds_read_b32 v0, v0
	v_mov_b32_e32 v40, v31
	s_mov_b32 s64, s12
	s_mov_b64 s[54:55], s[8:9]
	s_waitcnt lgkmcnt(0)
	v_cmp_gt_i32_e32 vcc, 1, v0
	s_cbranch_vccnz .LBB1_8
; %bb.1:
	s_mov_b32 s65, 0
	v_and_b32_e32 v41, 0x3ff, v40
	v_mov_b32_e32 v42, 6
	s_branch .LBB1_3
.LBB1_2:                                ;   in Loop: Header=BB1_3 Depth=1
	s_or_b64 exec, exec, s[66:67]
	s_trap 2
	ds_read_b32 v0, v0
	s_add_i32 s65, s65, 1
	s_waitcnt lgkmcnt(0)
	v_cmp_lt_i32_e32 vcc, s65, v0
	s_cbranch_vccz .LBB1_8
.LBB1_3:                                ; =>This Inner Loop Header: Depth=1
	s_trap 2
	ds_read_b32 v0, v0
	s_cmp_eq_u32 s65, 0
	s_cbranch_scc1 .LBB1_6
; %bb.4:                                ;   in Loop: Header=BB1_3 Depth=1
	s_trap 2
	s_waitcnt lgkmcnt(0)
	ds_read_b32 v1, v0
	s_waitcnt lgkmcnt(0)
	v_xor_b32_e32 v1, v1, v0
	v_and_b32_e32 v1, 0xff0000, v1
	v_cmp_eq_u32_e32 vcc, 0, v1
	s_cbranch_vccnz .LBB1_6
; %bb.5:                                ;   in Loop: Header=BB1_3 Depth=1
	s_waitcnt vmcnt(0)
	s_barrier
	ds_read_b32 v0, v0
.LBB1_6:                                ;   in Loop: Header=BB1_3 Depth=1
	s_waitcnt lgkmcnt(0)
	v_lshlrev_b32_sdwa v1, v42, v0 dst_sel:DWORD dst_unused:UNUSED_PAD src0_sel:DWORD src1_sel:BYTE_2
	v_cmp_lt_u32_e32 vcc, v41, v1
	s_and_saveexec_b64 s[66:67], vcc
	s_cbranch_execz .LBB1_2
; %bb.7:                                ;   in Loop: Header=BB1_3 Depth=1
	s_mov_b64 s[4:5], src_shared_base
	s_getpc_b64 s[6:7]
	s_add_u32 s6, s6, _ZN12_GLOBAL__N_17runRingI14__hip_fp8_e5m28FuncProdIS1_E7ProtoLLLi0ELi1ELi0EEEviiP15ncclDevWorkColl@rel32@lo+4
	s_addc_u32 s7, s7, _ZN12_GLOBAL__N_17runRingI14__hip_fp8_e5m28FuncProdIS1_E7ProtoLLLi0ELi1ELi0EEEviiP15ncclDevWorkColl@rel32@hi+12
	s_mov_b64 s[8:9], s[54:55]
	s_mov_b32 s12, s64
	v_mov_b32_e32 v31, v40
	v_mov_b32_e32 v0, v41
	;; [unrolled: 1-line block ×3, first 2 shown]
	s_swappc_b64 s[30:31], s[6:7]
	s_branch .LBB1_2
.LBB1_8:
	buffer_load_dword v63, off, s[0:3], s33 ; 4-byte Folded Reload
	buffer_load_dword v42, off, s[0:3], s33 offset:4 ; 4-byte Folded Reload
	buffer_load_dword v41, off, s[0:3], s33 offset:8 ; 4-byte Folded Reload
	;; [unrolled: 1-line block ×3, first 2 shown]
	v_readlane_b32 s30, v43, 18
	v_readlane_b32 s31, v43, 19
	;; [unrolled: 1-line block ×20, first 2 shown]
	s_mov_b32 s32, s33
	v_readlane_b32 s4, v43, 20
	s_or_saveexec_b64 s[6:7], -1
	buffer_load_dword v43, off, s[0:3], s33 offset:16 ; 4-byte Folded Reload
	s_mov_b64 exec, s[6:7]
	s_mov_b32 s33, s4
	s_waitcnt vmcnt(0)
	s_setpc_b64 s[30:31]
.Lfunc_end1:
	.size	_Z51ncclDevFunc_ReduceScatter_RING_LL_Prod_f8e5m2_0_0_1v, .Lfunc_end1-_Z51ncclDevFunc_ReduceScatter_RING_LL_Prod_f8e5m2_0_0_1v
                                        ; -- End function
	.set .L_Z51ncclDevFunc_ReduceScatter_RING_LL_Prod_f8e5m2_0_0_1v.num_vgpr, max(64, .L_ZN12_GLOBAL__N_17runRingI14__hip_fp8_e5m28FuncProdIS1_E7ProtoLLLi0ELi1ELi0EEEviiP15ncclDevWorkColl.num_vgpr)
	.set .L_Z51ncclDevFunc_ReduceScatter_RING_LL_Prod_f8e5m2_0_0_1v.num_agpr, max(0, .L_ZN12_GLOBAL__N_17runRingI14__hip_fp8_e5m28FuncProdIS1_E7ProtoLLLi0ELi1ELi0EEEviiP15ncclDevWorkColl.num_agpr)
	.set .L_Z51ncclDevFunc_ReduceScatter_RING_LL_Prod_f8e5m2_0_0_1v.numbered_sgpr, max(68, .L_ZN12_GLOBAL__N_17runRingI14__hip_fp8_e5m28FuncProdIS1_E7ProtoLLLi0ELi1ELi0EEEviiP15ncclDevWorkColl.numbered_sgpr)
	.set .L_Z51ncclDevFunc_ReduceScatter_RING_LL_Prod_f8e5m2_0_0_1v.num_named_barrier, max(0, .L_ZN12_GLOBAL__N_17runRingI14__hip_fp8_e5m28FuncProdIS1_E7ProtoLLLi0ELi1ELi0EEEviiP15ncclDevWorkColl.num_named_barrier)
	.set .L_Z51ncclDevFunc_ReduceScatter_RING_LL_Prod_f8e5m2_0_0_1v.private_seg_size, 32+max(.L_ZN12_GLOBAL__N_17runRingI14__hip_fp8_e5m28FuncProdIS1_E7ProtoLLLi0ELi1ELi0EEEviiP15ncclDevWorkColl.private_seg_size)
	.set .L_Z51ncclDevFunc_ReduceScatter_RING_LL_Prod_f8e5m2_0_0_1v.uses_vcc, or(1, .L_ZN12_GLOBAL__N_17runRingI14__hip_fp8_e5m28FuncProdIS1_E7ProtoLLLi0ELi1ELi0EEEviiP15ncclDevWorkColl.uses_vcc)
	.set .L_Z51ncclDevFunc_ReduceScatter_RING_LL_Prod_f8e5m2_0_0_1v.uses_flat_scratch, or(0, .L_ZN12_GLOBAL__N_17runRingI14__hip_fp8_e5m28FuncProdIS1_E7ProtoLLLi0ELi1ELi0EEEviiP15ncclDevWorkColl.uses_flat_scratch)
	.set .L_Z51ncclDevFunc_ReduceScatter_RING_LL_Prod_f8e5m2_0_0_1v.has_dyn_sized_stack, or(0, .L_ZN12_GLOBAL__N_17runRingI14__hip_fp8_e5m28FuncProdIS1_E7ProtoLLLi0ELi1ELi0EEEviiP15ncclDevWorkColl.has_dyn_sized_stack)
	.set .L_Z51ncclDevFunc_ReduceScatter_RING_LL_Prod_f8e5m2_0_0_1v.has_recursion, or(1, .L_ZN12_GLOBAL__N_17runRingI14__hip_fp8_e5m28FuncProdIS1_E7ProtoLLLi0ELi1ELi0EEEviiP15ncclDevWorkColl.has_recursion)
	.set .L_Z51ncclDevFunc_ReduceScatter_RING_LL_Prod_f8e5m2_0_0_1v.has_indirect_call, or(0, .L_ZN12_GLOBAL__N_17runRingI14__hip_fp8_e5m28FuncProdIS1_E7ProtoLLLi0ELi1ELi0EEEviiP15ncclDevWorkColl.has_indirect_call)
	.section	.AMDGPU.csdata,"",@progbits
; Function info:
; codeLenInByte = 704
; TotalNumSgprs: 100
; NumVgprs: 64
; ScratchSize: 304
; MemoryBound: 0
	.text
	.p2align	2                               ; -- Begin function _ZN12_GLOBAL__N_17runRingI14__hip_fp8_e5m28FuncProdIS1_E7ProtoLLLi0ELi2ELi0EEEviiP15ncclDevWorkColl
	.type	_ZN12_GLOBAL__N_17runRingI14__hip_fp8_e5m28FuncProdIS1_E7ProtoLLLi0ELi2ELi0EEEviiP15ncclDevWorkColl,@function
_ZN12_GLOBAL__N_17runRingI14__hip_fp8_e5m28FuncProdIS1_E7ProtoLLLi0ELi2ELi0EEEviiP15ncclDevWorkColl: ; @_ZN12_GLOBAL__N_17runRingI14__hip_fp8_e5m28FuncProdIS1_E7ProtoLLLi0ELi2ELi0EEEviiP15ncclDevWorkColl
; %bb.0:
	s_waitcnt vmcnt(0) expcnt(0) lgkmcnt(0)
	s_or_saveexec_b64 s[4:5], -1
	buffer_store_dword v63, off, s[0:3], s32 offset:264 ; 4-byte Folded Spill
	s_mov_b64 exec, s[4:5]
	buffer_store_dword v40, off, s[0:3], s32 offset:56 ; 4-byte Folded Spill
	buffer_store_dword v41, off, s[0:3], s32 offset:52 ; 4-byte Folded Spill
	;; [unrolled: 1-line block ×14, first 2 shown]
	buffer_store_dword v62, off, s[0:3], s32 ; 4-byte Folded Spill
	v_writelane_b32 v63, s34, 0
	v_writelane_b32 v63, s35, 1
	;; [unrolled: 1-line block ×14, first 2 shown]
	s_trap 2
	flat_load_dword v6, v[2:3]
	flat_load_dwordx4 v[10:13], v[2:3] offset:72
	flat_load_dwordx2 v[18:19], v[2:3] offset:88
	v_mov_b32_e32 v9, v0
	ds_read_b32 v4, v0
	s_waitcnt lgkmcnt(0)
	v_readfirstlane_b32 s20, v4
	s_waitcnt vmcnt(0)
	v_not_b32_sdwa v5, v6 dst_sel:DWORD dst_unused:UNUSED_PAD src0_sel:BYTE_0
	v_add_u32_sdwa v0, v6, v5 dst_sel:DWORD dst_unused:UNUSED_PAD src0_sel:BYTE_1 src1_sel:DWORD
	v_mul_lo_u32 v8, v13, v0
	v_mad_u64_u32 v[20:21], s[4:5], v12, v0, 0
	buffer_store_dword v10, off, s[0:3], s32 offset:148 ; 4-byte Folded Spill
	s_nop 0
	buffer_store_dword v11, off, s[0:3], s32 offset:152 ; 4-byte Folded Spill
	buffer_store_dword v12, off, s[0:3], s32 offset:156 ; 4-byte Folded Spill
	;; [unrolled: 1-line block ×3, first 2 shown]
	v_ashrrev_i32_e32 v7, 31, v0
	v_cmp_ne_u32_sdwa s[4:5], v4, v6 src0_sel:DWORD src1_sel:BYTE_0
	v_mul_lo_u32 v0, v12, v7
	ds_read_b64 v[10:11], v0
	v_add3_u32 v0, v21, v0, v8
	s_waitcnt lgkmcnt(0)
	buffer_store_dword v10, off, s[0:3], s32 offset:68 ; 4-byte Folded Spill
	s_nop 0
	buffer_store_dword v11, off, s[0:3], s32 offset:72 ; 4-byte Folded Spill
                                        ; implicit-def: $vgpr21_vgpr22
                                        ; implicit-def: $vgpr7_vgpr8
                                        ; kill: killed $vgpr7_vgpr8
	s_and_saveexec_b64 s[6:7], s[4:5]
	s_xor_b64 s[4:5], exec, s[6:7]
	s_cbranch_execz .LBB2_6
; %bb.1:
	v_cmp_ne_u32_sdwa s[6:7], v4, v6 src0_sel:DWORD src1_sel:BYTE_1
                                        ; implicit-def: $vgpr21_vgpr22
                                        ; implicit-def: $vgpr6_vgpr7
                                        ; kill: killed $vgpr6_vgpr7
	s_and_saveexec_b64 s[10:11], s[6:7]
	s_xor_b64 s[6:7], exec, s[10:11]
	s_cbranch_execz .LBB2_3
; %bb.2:
	flat_load_dwordx2 v[6:7], v[2:3] offset:96
	buffer_load_dword v10, off, s[0:3], s32 offset:148 ; 4-byte Folded Reload
	buffer_load_dword v11, off, s[0:3], s32 offset:152 ; 4-byte Folded Reload
	;; [unrolled: 1-line block ×4, first 2 shown]
	v_add_u32_e32 v4, v4, v5
	v_ashrrev_i32_e32 v5, 31, v4
	s_waitcnt vmcnt(0)
	v_mul_lo_u32 v5, v12, v5
	v_mul_lo_u32 v8, v13, v4
	v_mad_u64_u32 v[10:11], s[10:11], v12, v4, v[10:11]
	s_waitcnt lgkmcnt(0)
	v_lshrrev_b64 v[21:22], 17, v[6:7]
	v_add3_u32 v11, v8, v11, v5
	buffer_store_dword v10, off, s[0:3], s32 offset:164 ; 4-byte Folded Spill
	s_nop 0
	buffer_store_dword v11, off, s[0:3], s32 offset:168 ; 4-byte Folded Spill
.LBB2_3:
	s_andn2_saveexec_b64 s[6:7], s[6:7]
	s_cbranch_execz .LBB2_5
; %bb.4:
	flat_load_dword v4, v[2:3] offset:100
	buffer_load_dword v5, off, s[0:3], s32 offset:148 ; 4-byte Folded Reload
	buffer_load_dword v6, off, s[0:3], s32 offset:152 ; 4-byte Folded Reload
	;; [unrolled: 1-line block ×4, first 2 shown]
	s_waitcnt vmcnt(0)
	v_add_co_u32_e32 v7, vcc, v20, v5
	v_addc_co_u32_e32 v8, vcc, v0, v6, vcc
	buffer_store_dword v7, off, s[0:3], s32 offset:164 ; 4-byte Folded Spill
	s_nop 0
	buffer_store_dword v8, off, s[0:3], s32 offset:168 ; 4-byte Folded Spill
	v_mov_b32_e32 v7, v18
	s_waitcnt lgkmcnt(0)
	v_lshrrev_b32_e32 v21, 6, v4
	v_mov_b32_e32 v8, v19
	buffer_store_dword v5, off, s[0:3], s32 offset:148 ; 4-byte Folded Spill
	s_nop 0
	buffer_store_dword v6, off, s[0:3], s32 offset:152 ; 4-byte Folded Spill
	buffer_store_dword v7, off, s[0:3], s32 offset:156 ; 4-byte Folded Spill
	;; [unrolled: 1-line block ×3, first 2 shown]
.LBB2_5:
	s_or_b64 exec, exec, s[6:7]
.LBB2_6:
	s_andn2_saveexec_b64 s[4:5], s[4:5]
	s_cbranch_execz .LBB2_8
; %bb.7:
	flat_load_dwordx2 v[4:5], v[2:3] offset:96
	s_waitcnt vmcnt(0) lgkmcnt(0)
	v_lshlrev_b64 v[21:22], 4, v[4:5]
	v_mov_b32_e32 v4, 0
	v_mov_b32_e32 v5, 0
	buffer_store_dword v4, off, s[0:3], s32 offset:164 ; 4-byte Folded Spill
	s_nop 0
	buffer_store_dword v5, off, s[0:3], s32 offset:168 ; 4-byte Folded Spill
	buffer_load_dword v4, off, s[0:3], s32 offset:148 ; 4-byte Folded Reload
	s_nop 0
	buffer_load_dword v5, off, s[0:3], s32 offset:152 ; 4-byte Folded Reload
	buffer_load_dword v6, off, s[0:3], s32 offset:156 ; 4-byte Folded Reload
	;; [unrolled: 1-line block ×3, first 2 shown]
	s_waitcnt vmcnt(0)
	v_mov_b32_e32 v7, v5
	v_mov_b32_e32 v6, v4
	buffer_store_dword v4, off, s[0:3], s32 offset:148 ; 4-byte Folded Spill
	s_nop 0
	buffer_store_dword v5, off, s[0:3], s32 offset:152 ; 4-byte Folded Spill
	buffer_store_dword v6, off, s[0:3], s32 offset:156 ; 4-byte Folded Spill
	;; [unrolled: 1-line block ×3, first 2 shown]
.LBB2_8:
	s_or_b64 exec, exec, s[4:5]
	flat_load_dwordx4 v[4:7], v[2:3] offset:16
	v_ashrrev_i32_e32 v10, 31, v9
	v_mov_b32_e32 v24, 0
	s_mov_b32 s6, 0
	v_mov_b32_e32 v25, 0
	s_waitcnt vmcnt(0) lgkmcnt(0)
	buffer_store_dword v4, off, s[0:3], s32 offset:196 ; 4-byte Folded Spill
	s_nop 0
	buffer_store_dword v5, off, s[0:3], s32 offset:200 ; 4-byte Folded Spill
	buffer_store_dword v6, off, s[0:3], s32 offset:204 ; 4-byte Folded Spill
	buffer_store_dword v7, off, s[0:3], s32 offset:208 ; 4-byte Folded Spill
	flat_load_ushort v5, v[2:3] offset:8
	s_nop 0
	flat_load_dword v4, v[2:3] offset:4
	s_waitcnt vmcnt(0) lgkmcnt(0)
	v_lshrrev_b64 v[2:3], 31, v[4:5]
	v_mov_b32_e32 v3, 0
	v_and_b32_e32 v5, 3, v2
	v_lshrrev_b32_e32 v2, 26, v10
	v_add_u32_e32 v2, v9, v2
	buffer_store_dword v9, off, s[0:3], s32 offset:60 ; 4-byte Folded Spill
	s_nop 0
	buffer_store_dword v10, off, s[0:3], s32 offset:64 ; 4-byte Folded Spill
	s_load_dword s4, s[8:9], 0x0
	v_and_b32_e32 v2, 0xffffffc0, v2
	s_waitcnt lgkmcnt(0)
	s_cmp_lt_u32 s12, s4
	s_cselect_b32 s4, 12, 18
	s_add_u32 s4, s8, s4
	s_addc_u32 s5, s9, 0
	global_load_ushort v12, v3, s[4:5]
	s_trap 2
	v_sub_u32_e32 v4, v9, v2
	ds_read_b32 v2, v0
	v_cmp_eq_u32_e64 s[4:5], 0, v4
	s_waitcnt lgkmcnt(0)
	v_cmp_gt_i32_e32 vcc, 0, v2
	v_readfirstlane_b32 s8, v2
	s_cbranch_vccnz .LBB2_10
; %bb.9:
	s_trap 2
	ds_read_b64 v[6:7], v0
	v_lshlrev_b64 v[2:3], 3, v[2:3]
	s_movk_i32 s6, 0xa8
	s_waitcnt lgkmcnt(0)
	v_add_co_u32_e32 v2, vcc, v6, v2
	v_addc_co_u32_e32 v3, vcc, v7, v3, vcc
	flat_load_dwordx2 v[2:3], v[2:3]
	v_and_b32_e32 v6, 0xffff, v5
	s_waitcnt vmcnt(0) lgkmcnt(0)
	v_mad_u64_u32 v[2:3], s[6:7], v6, s6, v[2:3]
	s_mov_b32 s6, 1
	flat_load_dwordx2 v[6:7], v[2:3] offset:504
	v_add_co_u32_e32 v26, vcc, 0x1f8, v2
	v_addc_co_u32_e32 v27, vcc, 0, v3, vcc
	s_waitcnt vmcnt(0) lgkmcnt(0)
	buffer_store_dword v6, off, s[0:3], s32 offset:104 ; 4-byte Folded Spill
	s_nop 0
	buffer_store_dword v7, off, s[0:3], s32 offset:108 ; 4-byte Folded Spill
	flat_load_dwordx2 v[36:37], v[2:3] offset:608
	v_cndmask_b32_e64 v3, 0, v27, s[4:5]
	v_cndmask_b32_e64 v2, 0, v26, s[4:5]
	s_branch .LBB2_11
.LBB2_10:
	v_mov_b32_e32 v26, 0
	v_mov_b32_e32 v2, 0
	v_mov_b32_e32 v27, 0
	v_mov_b32_e32 v3, 0
                                        ; implicit-def: $vgpr36_vgpr37
                                        ; implicit-def: $vgpr6_vgpr7
                                        ; kill: killed $vgpr6_vgpr7
.LBB2_11:
	s_trap 2
	ds_read_b32 v14, v0
	s_waitcnt lgkmcnt(0)
	v_cmp_gt_i32_e32 vcc, 0, v14
	s_cbranch_vccnz .LBB2_13
; %bb.12:
	s_trap 2
	ds_read_b64 v[6:7], v0
	v_mov_b32_e32 v15, 0
	v_lshlrev_b64 v[8:9], 3, v[14:15]
	v_and_b32_e32 v5, 0xffff, v5
	s_movk_i32 s4, 0xa8
	s_waitcnt lgkmcnt(0)
	v_add_co_u32_e32 v6, vcc, v6, v8
	v_addc_co_u32_e32 v7, vcc, v7, v9, vcc
	flat_load_dwordx2 v[6:7], v[6:7]
	v_cmp_eq_u32_e32 vcc, 0, v4
	s_waitcnt vmcnt(0) lgkmcnt(0)
	v_mad_u64_u32 v[24:25], s[4:5], v5, s4, v[6:7]
	flat_load_dwordx2 v[5:6], v[24:25]
	v_cndmask_b32_e32 v17, 0, v25, vcc
	v_cndmask_b32_e32 v16, 0, v24, vcc
	s_waitcnt vmcnt(0) lgkmcnt(0)
	buffer_store_dword v5, off, s[0:3], s32 offset:76 ; 4-byte Folded Spill
	s_nop 0
	buffer_store_dword v6, off, s[0:3], s32 offset:80 ; 4-byte Folded Spill
	flat_load_dwordx2 v[22:23], v[24:25] offset:104
	s_branch .LBB2_14
.LBB2_13:
	v_mov_b32_e32 v16, 0
	v_mov_b32_e32 v17, 0
                                        ; implicit-def: $vgpr22_vgpr23
                                        ; implicit-def: $vgpr5_vgpr6
                                        ; kill: killed $vgpr5_vgpr6
.LBB2_14:
	buffer_load_dword v6, off, s[0:3], s32 offset:60 ; 4-byte Folded Reload
	buffer_load_dword v7, off, s[0:3], s32 offset:64 ; 4-byte Folded Reload
	v_subrev_u32_e32 v5, 64, v1
	v_cmp_gt_i32_e64 s[4:5], s6, v4
	v_mov_b32_e32 v14, 0
	v_mov_b32_e32 v15, 0
                                        ; implicit-def: $vgpr48_vgpr49
	s_waitcnt vmcnt(0)
	v_cmp_ge_i32_e32 vcc, v6, v5
	v_mov_b32_e32 v4, 0
	v_mov_b32_e32 v5, 0
	s_and_b64 s[22:23], vcc, s[4:5]
	buffer_store_dword v4, off, s[0:3], s32 offset:96 ; 4-byte Folded Spill
	s_nop 0
	buffer_store_dword v5, off, s[0:3], s32 offset:100 ; 4-byte Folded Spill
	s_and_saveexec_b64 s[4:5], s[22:23]
	s_cbranch_execz .LBB2_16
; %bb.15:
	flat_load_dwordx2 v[4:5], v[2:3] offset:56
	s_waitcnt vmcnt(0) lgkmcnt(0)
	buffer_store_dword v4, off, s[0:3], s32 offset:96 ; 4-byte Folded Spill
	s_nop 0
	buffer_store_dword v5, off, s[0:3], s32 offset:100 ; 4-byte Folded Spill
	flat_load_dwordx2 v[48:49], v[2:3] offset:104
.LBB2_16:
	s_or_b64 exec, exec, s[4:5]
	buffer_load_dword v2, off, s[0:3], s32 offset:60 ; 4-byte Folded Reload
	buffer_load_dword v3, off, s[0:3], s32 offset:64 ; 4-byte Folded Reload
	v_mov_b32_e32 v52, 0
	v_mov_b32_e32 v53, 0
                                        ; implicit-def: $vgpr54_vgpr55
	s_waitcnt vmcnt(0)
	v_cmp_gt_i32_e64 s[4:5], s6, v2
	s_and_saveexec_b64 s[6:7], s[4:5]
	s_cbranch_execz .LBB2_18
; %bb.17:
	flat_load_dwordx2 v[52:53], v[16:17] offset:56
	s_waitcnt vmcnt(0) lgkmcnt(0)
	flat_load_dwordx2 v[54:55], v[52:53] glc
	s_waitcnt vmcnt(0)
	flat_load_dwordx4 v[14:17], v[16:17] offset:96
.LBB2_18:
	s_or_b64 exec, exec, s[6:7]
	buffer_load_dword v8, off, s[0:3], s32 offset:148 ; 4-byte Folded Reload
	buffer_load_dword v9, off, s[0:3], s32 offset:152 ; 4-byte Folded Reload
	;; [unrolled: 1-line block ×4, first 2 shown]
	v_mov_b32_e32 v42, 0
	v_mov_b32_e32 v43, 0
	s_waitcnt vmcnt(0)
	v_cmp_ne_u64_e32 vcc, 0, v[10:11]
	s_and_saveexec_b64 s[24:25], vcc
	s_cbranch_execnz .LBB2_22
; %bb.19:
	s_or_b64 exec, exec, s[24:25]
	s_and_saveexec_b64 s[6:7], s[22:23]
	s_cbranch_execnz .LBB2_789
.LBB2_20:
	s_or_b64 exec, exec, s[6:7]
	s_and_saveexec_b64 s[6:7], s[4:5]
	s_cbranch_execnz .LBB2_790
.LBB2_21:
	s_or_b64 exec, exec, s[6:7]
	v_cmp_ne_u32_e32 vcc, 64, v1
	s_and_saveexec_b64 s[4:5], vcc
	s_cbranch_execnz .LBB2_791
	s_branch .LBB2_808
.LBB2_22:
	v_add_co_u32_e32 v2, vcc, v18, v8
	v_addc_co_u32_e32 v4, vcc, v19, v9, vcc
	v_add_co_u32_e32 v2, vcc, v2, v20
	v_addc_co_u32_e32 v0, vcc, v4, v0, vcc
	buffer_store_dword v26, off, s[0:3], s32 offset:256 ; 4-byte Folded Spill
	s_nop 0
	buffer_store_dword v27, off, s[0:3], s32 offset:260 ; 4-byte Folded Spill
	buffer_store_dword v24, off, s[0:3], s32 offset:248 ; 4-byte Folded Spill
	s_nop 0
	buffer_store_dword v25, off, s[0:3], s32 offset:252 ; 4-byte Folded Spill
	buffer_store_dword v2, off, s[0:3], s32 offset:88 ; 4-byte Folded Spill
	;; [unrolled: 1-line block ×3, first 2 shown]
	buffer_load_dword v4, off, s[0:3], s32 offset:68 ; 4-byte Folded Reload
	buffer_load_dword v5, off, s[0:3], s32 offset:72 ; 4-byte Folded Reload
	s_ashr_i32 s6, s8, 31
	s_lshr_b32 s6, s6, 29
	s_ashr_i32 s21, s20, 31
	s_add_i32 s8, s8, s6
	s_lshl_b64 s[6:7], s[20:21], 2
	v_mov_b32_e32 v0, s7
	v_cmp_ne_u32_sdwa s[40:41], v1, v12 src0_sel:DWORD src1_sel:WORD_0
	v_mov_b32_e32 v3, 0
	s_ashr_i32 s10, s8, 3
	s_ashr_i32 s36, s8, 7
	s_and_b32 s21, s10, -16
	s_waitcnt lgkmcnt(0)
	v_cmp_ne_u64_e64 s[8:9], 0, v[14:15]
	s_cmp_gt_i32 s20, 2
	s_mov_b32 s46, -1
	v_mov_b32_e32 v28, 0
	v_mov_b32_e32 v42, 0
	v_and_b32_e32 v24, 0x1fffff0, v21
	s_mov_b32 s27, 0
	v_mov_b32_e32 v25, v3
	s_mov_b64 s[28:29], 0
	v_cmp_ne_u32_e64 s[10:11], 64, v1
	v_lshlrev_b32_e32 v13, 3, v1
	s_cselect_b64 s[42:43], -1, 0
	s_mov_b64 s[44:45], 0x7ffffff8
	s_movk_i32 s37, 0xff
	s_movk_i32 s38, 0xff80
	;; [unrolled: 1-line block ×3, first 2 shown]
	s_mov_b32 s47, 0xffffff
	s_mov_b64 s[56:57], 0x7f800000
	s_movk_i32 s48, 0x80
	s_mov_b64 s[58:59], 0x47600001
	s_movk_i32 s49, 0x72
	;; [unrolled: 2-line block ×3, first 2 shown]
	s_mov_b32 s51, 0x7c0000
	s_brev_b32 s52, 62
	v_mov_b32_e32 v27, -1
	v_mov_b32_e32 v40, 0x70
	v_mov_b32_e32 v41, 0xffffff82
	;; [unrolled: 1-line block ×6, first 2 shown]
	s_waitcnt vmcnt(1)
	v_add_co_u32_e32 v2, vcc, s6, v4
	s_waitcnt vmcnt(0)
	v_addc_co_u32_e32 v0, vcc, v5, v0, vcc
	v_add_co_u32_e32 v4, vcc, -4, v2
	v_addc_co_u32_e32 v5, vcc, -1, v0, vcc
	v_and_b32_e32 v0, 63, v31
	v_cmp_eq_u32_e64 s[12:13], 0, v0
	v_lshrrev_b32_e32 v0, 6, v1
	buffer_store_dword v4, off, s[0:3], s32 offset:180 ; 4-byte Folded Spill
	s_nop 0
	buffer_store_dword v5, off, s[0:3], s32 offset:184 ; 4-byte Folded Spill
	buffer_store_dword v12, off, s[0:3], s32 offset:244 ; 4-byte Folded Spill
	;; [unrolled: 1-line block ×4, first 2 shown]
	buffer_load_dword v4, off, s[0:3], s32 offset:60 ; 4-byte Folded Reload
	s_nop 0
	buffer_load_dword v5, off, s[0:3], s32 offset:64 ; 4-byte Folded Reload
	buffer_load_dword v6, off, s[0:3], s32 offset:196 ; 4-byte Folded Reload
	;; [unrolled: 1-line block ×5, first 2 shown]
	v_cmp_ne_u64_e64 s[6:7], 0, v[52:53]
	s_waitcnt vmcnt(5)
	v_lshlrev_b32_e32 v12, 3, v4
	v_ashrrev_i32_e32 v20, 31, v12
	s_waitcnt vmcnt(1)
	v_add_co_u32_e32 v0, vcc, v8, v12
	buffer_store_dword v0, off, s[0:3], s32 offset:216 ; 4-byte Folded Spill
	s_waitcnt vmcnt(1)
	v_addc_co_u32_e32 v0, vcc, v9, v20, vcc
	buffer_store_dword v0, off, s[0:3], s32 offset:220 ; 4-byte Folded Spill
	v_add_co_u32_e32 v0, vcc, v6, v12
	buffer_load_dword v18, off, s[0:3], s32 offset:96 ; 4-byte Folded Reload
	buffer_load_dword v19, off, s[0:3], s32 offset:100 ; 4-byte Folded Reload
	v_lshlrev_b64 v[4:5], 4, v[4:5]
	buffer_store_dword v0, off, s[0:3], s32 offset:224 ; 4-byte Folded Spill
	v_addc_co_u32_e32 v0, vcc, v7, v20, vcc
	buffer_store_dword v0, off, s[0:3], s32 offset:228 ; 4-byte Folded Spill
	buffer_load_dword v6, off, s[0:3], s32 offset:164 ; 4-byte Folded Reload
	buffer_load_dword v7, off, s[0:3], s32 offset:168 ; 4-byte Folded Reload
	s_waitcnt vmcnt(4)
	v_cmp_ne_u64_e64 s[14:15], 0, v[18:19]
	buffer_store_dword v12, off, s[0:3], s32 offset:144 ; 4-byte Folded Spill
	buffer_store_dword v20, off, s[0:3], s32 offset:212 ; 4-byte Folded Spill
	s_waitcnt vmcnt(3)
	v_add_co_u32_e32 v0, vcc, v6, v8
	s_waitcnt vmcnt(2)
	v_addc_co_u32_e32 v2, vcc, v7, v9, vcc
	v_add_co_u32_e32 v6, vcc, v0, v12
	v_addc_co_u32_e32 v7, vcc, v2, v20, vcc
	v_lshlrev_b32_e32 v0, 6, v1
	buffer_store_dword v6, off, s[0:3], s32 offset:128 ; 4-byte Folded Spill
	s_nop 0
	buffer_store_dword v7, off, s[0:3], s32 offset:132 ; 4-byte Folded Spill
	buffer_store_dword v0, off, s[0:3], s32 offset:84 ; 4-byte Folded Spill
	buffer_load_dword v6, off, s[0:3], s32 offset:76 ; 4-byte Folded Reload
	s_nop 0
	buffer_load_dword v7, off, s[0:3], s32 offset:80 ; 4-byte Folded Reload
	v_mov_b32_e32 v2, v3
	v_lshlrev_b64 v[44:45], 4, v[1:2]
	v_mov_b32_e32 v8, 0x7f800000
	v_mov_b32_e32 v9, 0x7f800001
	v_bfrev_b32_e32 v12, 0.5
	s_waitcnt vmcnt(1)
	v_add_co_u32_e32 v0, vcc, v6, v4
	buffer_store_dword v0, off, s[0:3], s32 offset:232 ; 4-byte Folded Spill
	s_waitcnt vmcnt(1)
	v_addc_co_u32_e32 v0, vcc, v7, v5, vcc
	v_mov_b32_e32 v5, 0xff800000
	buffer_store_dword v0, off, s[0:3], s32 offset:236 ; 4-byte Folded Spill
	buffer_store_dword v24, off, s[0:3], s32 offset:172 ; 4-byte Folded Spill
	s_nop 0
	buffer_store_dword v25, off, s[0:3], s32 offset:176 ; 4-byte Folded Spill
	s_branch .LBB2_24
.LBB2_23:                               ;   in Loop: Header=BB2_24 Depth=1
	s_or_b64 exec, exec, s[16:17]
	buffer_load_dword v6, off, s[0:3], s32 offset:128 ; 4-byte Folded Reload
	buffer_load_dword v7, off, s[0:3], s32 offset:132 ; 4-byte Folded Reload
	v_add_co_u32_e32 v36, vcc, 1, v36
	v_addc_co_u32_e32 v37, vcc, 0, v37, vcc
	v_add_co_u32_e32 v28, vcc, v28, v24
	v_addc_co_u32_e32 v29, vcc, 0, v29, vcc
	s_waitcnt vmcnt(0)
	v_add_co_u32_e32 v6, vcc, v6, v24
	v_addc_co_u32_e32 v7, vcc, 0, v7, vcc
	v_cmp_ge_u64_e32 vcc, v[28:29], v[10:11]
	buffer_store_dword v6, off, s[0:3], s32 offset:128 ; 4-byte Folded Spill
	s_nop 0
	buffer_store_dword v7, off, s[0:3], s32 offset:132 ; 4-byte Folded Spill
	s_or_b64 s[28:29], vcc, s[28:29]
	s_andn2_b64 exec, exec, s[28:29]
	s_cbranch_execz .LBB2_788
.LBB2_24:                               ; =>This Loop Header: Depth=1
                                        ;     Child Loop BB2_29 Depth 2
                                        ;     Child Loop BB2_48 Depth 2
	;; [unrolled: 1-line block ×5, first 2 shown]
                                        ;       Child Loop BB2_78 Depth 3
                                        ;       Child Loop BB2_97 Depth 3
	;; [unrolled: 1-line block ×3, first 2 shown]
                                        ;         Child Loop BB2_126 Depth 4
                                        ;       Child Loop BB2_429 Depth 3
                                        ;       Child Loop BB2_114 Depth 3
                                        ;     Child Loop BB2_444 Depth 2
                                        ;       Child Loop BB2_452 Depth 3
                                        ;     Child Loop BB2_775 Depth 2
	buffer_load_dword v6, off, s[0:3], s32 offset:180 ; 4-byte Folded Reload
	buffer_load_dword v7, off, s[0:3], s32 offset:184 ; 4-byte Folded Reload
	s_waitcnt vmcnt(0) lgkmcnt(0)
	flat_load_dword v0, v[6:7]
	v_sub_co_u32_e32 v6, vcc, v10, v28
	v_subb_co_u32_e32 v7, vcc, v11, v29, vcc
	v_cmp_lt_u64_e32 vcc, v[24:25], v[6:7]
	v_cndmask_b32_e32 v4, v6, v24, vcc
	v_lshl_add_u32 v2, v4, 1, 14
	v_and_b32_e32 v2, 0x7fffff0, v2
	buffer_store_dword v2, off, s[0:3], s32 offset:120 ; 4-byte Folded Spill
	s_and_saveexec_b64 s[18:19], s[6:7]
	s_cbranch_execz .LBB2_40
; %bb.25:                               ;   in Loop: Header=BB2_24 Depth=1
	v_add_co_u32_e32 v18, vcc, 1, v16
	v_addc_co_u32_e32 v19, vcc, 0, v17, vcc
	v_add_co_u32_e32 v6, vcc, 8, v54
	v_addc_co_u32_e32 v7, vcc, 0, v55, vcc
	v_cmp_lt_u64_e32 vcc, v[6:7], v[18:19]
	s_and_saveexec_b64 s[62:63], vcc
	s_cbranch_execz .LBB2_37
; %bb.26:                               ;   in Loop: Header=BB2_24 Depth=1
	s_mov_b32 s26, 0
	v_cmp_eq_u32_e32 vcc, 0, v51
	s_mov_b64 s[72:73], 0
                                        ; implicit-def: $sgpr74_sgpr75
                                        ; implicit-def: $sgpr76_sgpr77
                                        ; implicit-def: $sgpr78_sgpr79
	s_branch .LBB2_29
.LBB2_27:                               ;   in Loop: Header=BB2_29 Depth=2
	s_or_b64 exec, exec, s[30:31]
	s_andn2_b64 s[16:17], s[78:79], exec
	s_and_b64 s[78:79], s[92:93], exec
	s_or_b64 s[78:79], s[16:17], s[78:79]
	s_andn2_b64 s[16:17], s[76:77], exec
	s_and_b64 s[76:77], s[90:91], exec
	v_mov_b32_e32 v6, 0
	s_or_b64 s[76:77], s[16:17], s[76:77]
.LBB2_28:                               ;   in Loop: Header=BB2_29 Depth=2
	s_or_b64 exec, exec, s[88:89]
	s_and_b64 s[16:17], exec, s[76:77]
	s_or_b64 s[72:73], s[16:17], s[72:73]
	s_andn2_b64 s[16:17], s[74:75], exec
	s_and_b64 s[74:75], s[78:79], exec
	s_or_b64 s[74:75], s[16:17], s[74:75]
	s_andn2_b64 exec, exec, s[72:73]
	s_cbranch_execz .LBB2_34
.LBB2_29:                               ;   Parent Loop BB2_24 Depth=1
                                        ; =>  This Inner Loop Header: Depth=2
	s_sleep 1
	s_waitcnt vmcnt(0) lgkmcnt(0)
	flat_load_dwordx2 v[54:55], v[52:53] glc
	s_or_b64 s[78:79], s[78:79], exec
	s_or_b64 s[76:77], s[76:77], exec
	v_mov_b32_e32 v6, v51
                                        ; implicit-def: $vgpr2
	s_and_saveexec_b64 s[88:89], vcc
	s_cbranch_execz .LBB2_28
; %bb.30:                               ;   in Loop: Header=BB2_29 Depth=2
	s_add_i32 s26, s26, 1
	s_cmpk_lg_i32 s26, 0x2710
	s_cselect_b64 s[94:95], -1, 0
	s_cmpk_eq_i32 s26, 0x2710
	s_mov_b64 s[90:91], -1
	s_mov_b64 s[92:93], -1
                                        ; implicit-def: $vgpr2
	s_cbranch_scc1 .LBB2_32
; %bb.31:                               ;   in Loop: Header=BB2_29 Depth=2
	s_and_saveexec_b64 s[30:31], s[94:95]
	s_cbranch_execz .LBB2_27
	s_branch .LBB2_33
.LBB2_32:                               ;   in Loop: Header=BB2_29 Depth=2
	s_trap 2
	s_waitcnt vmcnt(0) lgkmcnt(0)
	ds_read_b64 v[6:7], v0
	s_andn2_b64 s[94:95], s[94:95], exec
	s_mov_b32 s26, 0
	s_mov_b64 s[92:93], 0
	s_waitcnt lgkmcnt(0)
	flat_load_dword v2, v[6:7] glc
	s_waitcnt vmcnt(0) lgkmcnt(0)
	buffer_wbinvl1_vol
	v_cmp_eq_u32_e64 s[16:17], 0, v2
	s_and_b64 s[16:17], s[16:17], exec
	s_or_b64 s[94:95], s[94:95], s[16:17]
	s_and_saveexec_b64 s[30:31], s[94:95]
	s_cbranch_execz .LBB2_27
.LBB2_33:                               ;   in Loop: Header=BB2_29 Depth=2
	s_waitcnt vmcnt(0) lgkmcnt(0)
	v_add_co_u32_e64 v6, s[16:17], 8, v54
	v_addc_co_u32_e64 v7, s[16:17], 0, v55, s[16:17]
	v_cmp_ge_u64_e64 s[16:17], v[6:7], v[18:19]
	s_or_b64 s[92:93], s[92:93], exec
	s_orn2_b64 s[90:91], s[16:17], exec
	s_branch .LBB2_27
.LBB2_34:                               ;   in Loop: Header=BB2_24 Depth=1
	s_or_b64 exec, exec, s[72:73]
	s_xor_b64 s[16:17], s[74:75], -1
	s_and_saveexec_b64 s[72:73], s[16:17]
	s_xor_b64 s[16:17], exec, s[72:73]
	s_cbranch_execz .LBB2_36
; %bb.35:                               ;   in Loop: Header=BB2_24 Depth=1
	v_mov_b32_e32 v6, 1
	s_waitcnt vmcnt(0) lgkmcnt(0)
	ds_write_b32 v0, v2
	s_trap 2
.LBB2_36:                               ;   in Loop: Header=BB2_24 Depth=1
	s_or_b64 exec, exec, s[16:17]
	v_mov_b32_e32 v51, v6
.LBB2_37:                               ;   in Loop: Header=BB2_24 Depth=1
	s_or_b64 exec, exec, s[62:63]
	s_and_saveexec_b64 s[16:17], s[8:9]
	s_cbranch_execz .LBB2_39
; %bb.38:                               ;   in Loop: Header=BB2_24 Depth=1
	v_and_b32_e32 v2, 0x7ffffff8, v16
	v_cmp_eq_u64_e32 vcc, s[44:45], v[2:3]
	buffer_load_dword v2, off, s[0:3], s32 offset:120 ; 4-byte Folded Reload
	v_and_b32_e32 v6, 7, v16
	v_mad_u64_u32 v[6:7], s[62:63], v6, 24, v[14:15]
	v_mov_b32_e32 v10, s21
	s_waitcnt vmcnt(0)
	v_cndmask_b32_e32 v10, v2, v10, vcc
	v_ashrrev_i32_e32 v11, 31, v10
	flat_store_dwordx2 v[6:7], v[10:11] offset:8
	s_waitcnt vmcnt(0)
.LBB2_39:                               ;   in Loop: Header=BB2_24 Depth=1
	s_or_b64 exec, exec, s[16:17]
	v_mov_b32_e32 v16, v18
	v_mov_b32_e32 v17, v19
.LBB2_40:                               ;   in Loop: Header=BB2_24 Depth=1
	s_or_b64 exec, exec, s[18:19]
	s_and_saveexec_b64 s[16:17], s[10:11]
	s_cbranch_execz .LBB2_59
; %bb.41:                               ;   in Loop: Header=BB2_24 Depth=1
	s_and_saveexec_b64 s[18:19], s[40:41]
	s_xor_b64 s[18:19], exec, s[18:19]
	s_cbranch_execz .LBB2_56
; %bb.42:                               ;   in Loop: Header=BB2_24 Depth=1
	s_and_saveexec_b64 s[62:63], s[12:13]
	s_cbranch_execz .LBB2_55
; %bb.43:                               ;   in Loop: Header=BB2_24 Depth=1
	s_mov_b64 s[74:75], exec
	v_mbcnt_lo_u32_b32 v2, s74, 0
	v_mbcnt_hi_u32_b32 v2, s75, v2
	v_cmp_eq_u32_e32 vcc, 0, v2
	s_waitcnt vmcnt(0) lgkmcnt(0)
	buffer_wbinvl1_vol
	s_and_saveexec_b64 s[72:73], vcc
	s_cbranch_execz .LBB2_45
; %bb.44:                               ;   in Loop: Header=BB2_24 Depth=1
	s_bcnt1_i32_b64 s26, s[74:75]
	v_mov_b32_e32 v2, s26
	ds_add_u64 v0, v[2:3]
	s_trap 2
.LBB2_45:                               ;   in Loop: Header=BB2_24 Depth=1
	s_or_b64 exec, exec, s[72:73]
	s_trap 2
	ds_read_b64 v[6:7], v0
	s_waitcnt lgkmcnt(0)
	buffer_load_dword v2, off, s[0:3], s32 offset:124 ; 4-byte Folded Reload
	s_waitcnt vmcnt(0)
	v_add_co_u32_e32 v42, vcc, v42, v2
	v_addc_co_u32_e32 v43, vcc, 0, v43, vcc
	v_cmp_lt_u64_e32 vcc, v[6:7], v[42:43]
	s_and_saveexec_b64 s[72:73], vcc
	s_cbranch_execz .LBB2_54
; %bb.46:                               ;   in Loop: Header=BB2_24 Depth=1
	s_mov_b32 s26, 0
	s_mov_b64 s[74:75], 0
                                        ; implicit-def: $sgpr76_sgpr77
                                        ; implicit-def: $sgpr78_sgpr79
	s_branch .LBB2_48
.LBB2_47:                               ;   in Loop: Header=BB2_48 Depth=2
	s_or_b64 exec, exec, s[90:91]
	s_and_b64 s[88:89], exec, s[92:93]
	s_or_b64 s[74:75], s[88:89], s[74:75]
	s_andn2_b64 s[76:77], s[76:77], exec
	s_and_b64 s[88:89], s[78:79], exec
	s_or_b64 s[76:77], s[76:77], s[88:89]
	s_andn2_b64 exec, exec, s[74:75]
	s_cbranch_execz .LBB2_52
.LBB2_48:                               ;   Parent Loop BB2_24 Depth=1
                                        ; =>  This Inner Loop Header: Depth=2
	s_add_i32 s26, s26, 1
	s_cmpk_lg_i32 s26, 0x2710
	s_cselect_b64 s[88:89], -1, 0
	s_and_b64 vcc, exec, s[88:89]
	s_cbranch_vccz .LBB2_50
; %bb.49:                               ;   in Loop: Header=BB2_48 Depth=2
	s_mov_b64 s[92:93], -1
	s_or_b64 s[78:79], s[78:79], exec
	s_and_saveexec_b64 s[90:91], s[88:89]
	s_cbranch_execz .LBB2_47
	s_branch .LBB2_51
.LBB2_50:                               ;   in Loop: Header=BB2_48 Depth=2
	s_trap 2
	ds_read_b64 v[6:7], v0
	s_andn2_b64 s[88:89], s[88:89], exec
	s_mov_b32 s26, 0
	s_waitcnt lgkmcnt(0)
	flat_load_dword v2, v[6:7] glc
	s_waitcnt vmcnt(0) lgkmcnt(0)
	buffer_wbinvl1_vol
	v_cmp_eq_u32_e32 vcc, 0, v2
	s_and_b64 s[90:91], vcc, exec
	s_or_b64 s[88:89], s[88:89], s[90:91]
	s_mov_b64 s[92:93], -1
	s_or_b64 s[78:79], s[78:79], exec
	s_and_saveexec_b64 s[90:91], s[88:89]
	s_cbranch_execz .LBB2_47
.LBB2_51:                               ;   in Loop: Header=BB2_48 Depth=2
	s_sleep 1
	s_trap 2
	ds_read_b64 v[6:7], v0
	s_waitcnt lgkmcnt(0)
	s_andn2_b64 s[78:79], s[78:79], exec
	v_cmp_ge_u64_e32 vcc, v[6:7], v[42:43]
	s_orn2_b64 s[92:93], vcc, exec
	s_branch .LBB2_47
.LBB2_52:                               ;   in Loop: Header=BB2_24 Depth=1
	s_or_b64 exec, exec, s[74:75]
	s_and_saveexec_b64 s[74:75], s[76:77]
	s_xor_b64 s[74:75], exec, s[74:75]
	s_cbranch_execz .LBB2_54
; %bb.53:                               ;   in Loop: Header=BB2_24 Depth=1
	v_mov_b32_e32 v2, 1
	ds_write_b32 v0, v2
	s_trap 2
.LBB2_54:                               ;   in Loop: Header=BB2_24 Depth=1
	s_or_b64 exec, exec, s[72:73]
	;;#ASMSTART
	s_wakeup
	;;#ASMEND
.LBB2_55:                               ;   in Loop: Header=BB2_24 Depth=1
	s_or_b64 exec, exec, s[62:63]
.LBB2_56:                               ;   in Loop: Header=BB2_24 Depth=1
	s_andn2_saveexec_b64 s[18:19], s[18:19]
	s_cbranch_execz .LBB2_58
; %bb.57:                               ;   in Loop: Header=BB2_24 Depth=1
	s_waitcnt vmcnt(0) lgkmcnt(0)
	buffer_wbinvl1_vol
	s_barrier
.LBB2_58:                               ;   in Loop: Header=BB2_24 Depth=1
	s_or_b64 exec, exec, s[18:19]
.LBB2_59:                               ;   in Loop: Header=BB2_24 Depth=1
	s_or_b64 exec, exec, s[16:17]
	buffer_load_dword v2, off, s[0:3], s32 offset:144 ; 4-byte Folded Reload
	buffer_load_dword v32, off, s[0:3], s32 offset:60 ; 4-byte Folded Reload
	;; [unrolled: 1-line block ×3, first 2 shown]
	v_add_u32_e32 v19, 1, v22
	s_waitcnt vmcnt(0)
	v_sub_u32_e32 v7, v4, v2
	v_cmp_lt_i32_e64 s[16:17], 0, v7
	v_and_b32_e32 v4, 7, v22
	s_and_saveexec_b64 s[18:19], s[16:17]
	s_cbranch_execz .LBB2_67
; %bb.60:                               ;   in Loop: Header=BB2_24 Depth=1
	buffer_load_dword v11, off, s[0:3], s32 offset:88 ; 4-byte Folded Reload
	buffer_load_dword v20, off, s[0:3], s32 offset:128 ; 4-byte Folded Reload
	;; [unrolled: 1-line block ×4, first 2 shown]
	s_waitcnt lgkmcnt(0)
	v_ashrrev_i32_e32 v2, 31, v0
	v_mul_lo_u32 v10, v4, s36
	s_waitcnt vmcnt(3)
	v_mul_lo_u32 v2, v11, v2
	s_waitcnt vmcnt(1)
	v_mad_u64_u32 v[30:31], s[62:63], v11, v0, v[20:21]
	s_waitcnt vmcnt(0)
	v_mul_lo_u32 v6, v6, v0
	v_mul_lo_u32 v0, v11, v0
	v_ashrrev_i32_e32 v11, 31, v10
	v_lshlrev_b64 v[10:11], 4, v[10:11]
	v_add3_u32 v31, v6, v31, v2
	buffer_load_dword v2, off, s[0:3], s32 offset:232 ; 4-byte Folded Reload
	v_add_lshl_u32 v0, v20, v0, 3
	s_mov_b64 s[62:63], 0
	v_mov_b32_e32 v6, v7
	s_waitcnt vmcnt(0)
	v_add_co_u32_e32 v56, vcc, v2, v10
	buffer_load_dword v2, off, s[0:3], s32 offset:236 ; 4-byte Folded Reload
	buffer_load_dword v32, off, s[0:3], s32 offset:60 ; 4-byte Folded Reload
	;; [unrolled: 1-line block ×3, first 2 shown]
	s_waitcnt vmcnt(2)
	v_addc_co_u32_e32 v57, vcc, v2, v11, vcc
	s_branch .LBB2_62
.LBB2_61:                               ;   in Loop: Header=BB2_62 Depth=2
	s_or_b64 exec, exec, s[72:73]
	buffer_load_dword v2, off, s[0:3], s32 offset:84 ; 4-byte Folded Reload
	v_add_co_u32_e32 v30, vcc, v30, v13
	v_sub_u32_e32 v6, v6, v13
	v_addc_co_u32_e32 v31, vcc, 0, v31, vcc
	s_waitcnt vmcnt(1)
	v_alignbit_b32 v18, v24, v10, v0
	v_alignbit_b32 v20, v11, v24, v0
	v_mov_b32_e32 v21, v19
	v_cmp_gt_i32_e32 vcc, 1, v6
	global_store_dwordx4 v[56:57], v[18:21], off
	s_or_b64 s[62:63], vcc, s[62:63]
	v_add_co_u32_e32 v56, vcc, v56, v44
	v_add_u32_e32 v32, v32, v1
	v_addc_co_u32_e32 v57, vcc, v57, v45, vcc
	s_waitcnt vmcnt(1)
	v_add_u32_e32 v0, v0, v2
	s_andn2_b64 exec, exec, s[62:63]
	s_cbranch_execz .LBB2_66
.LBB2_62:                               ;   Parent Loop BB2_24 Depth=1
                                        ; =>  This Inner Loop Header: Depth=2
	v_and_b32_e32 v20, -4, v30
	v_mov_b32_e32 v21, v31
	global_load_dword v10, v[20:21], off glc slc
	v_min_u32_e32 v2, 8, v6
	v_and_b32_e32 v11, 3, v30
	v_add_u32_e32 v2, v11, v2
	v_cmp_lt_u32_e32 vcc, 4, v2
	v_mov_b32_e32 v11, 0
	v_mov_b32_e32 v24, 0
	s_and_saveexec_b64 s[72:73], vcc
	s_cbranch_execz .LBB2_64
; %bb.63:                               ;   in Loop: Header=BB2_62 Depth=2
	global_load_dword v24, v[20:21], off offset:4 glc slc
.LBB2_64:                               ;   in Loop: Header=BB2_62 Depth=2
	s_or_b64 exec, exec, s[72:73]
	v_cmp_lt_u64_e32 vcc, 8, v[2:3]
	s_and_saveexec_b64 s[72:73], vcc
	s_cbranch_execz .LBB2_61
; %bb.65:                               ;   in Loop: Header=BB2_62 Depth=2
	global_load_dword v11, v[20:21], off offset:8 glc slc
	s_branch .LBB2_61
.LBB2_66:                               ;   in Loop: Header=BB2_24 Depth=1
	s_or_b64 exec, exec, s[62:63]
.LBB2_67:                               ;   in Loop: Header=BB2_24 Depth=1
	s_or_b64 exec, exec, s[18:19]
	v_and_b32_e32 v2, 0x7ffffff8, v22
	v_cmp_eq_u64_e32 vcc, s[44:45], v[2:3]
	v_cmp_gt_i32_e64 s[18:19], s36, v32
	s_and_b64 s[18:19], vcc, s[18:19]
	s_and_saveexec_b64 s[62:63], s[18:19]
	s_cbranch_execz .LBB2_70
; %bb.68:                               ;   in Loop: Header=BB2_24 Depth=1
	v_mul_lo_u32 v10, v4, s36
	v_ashrrev_i32_e32 v33, 31, v32
	v_lshlrev_b64 v[20:21], 4, v[32:33]
	v_mov_b32_e32 v18, v3
	v_ashrrev_i32_e32 v11, 31, v10
	v_lshlrev_b64 v[10:11], 4, v[10:11]
	s_mov_b64 s[72:73], 0
	s_waitcnt lgkmcnt(0)
	v_add_co_u32_e32 v0, vcc, v20, v10
	v_addc_co_u32_e32 v2, vcc, v21, v11, vcc
	buffer_load_dword v10, off, s[0:3], s32 offset:76 ; 4-byte Folded Reload
	buffer_load_dword v11, off, s[0:3], s32 offset:80 ; 4-byte Folded Reload
	s_waitcnt vmcnt(1)
	v_add_co_u32_e32 v30, vcc, v10, v0
	s_waitcnt vmcnt(0)
	v_addc_co_u32_e32 v31, vcc, v11, v2, vcc
.LBB2_69:                               ;   Parent Loop BB2_24 Depth=1
                                        ; =>  This Inner Loop Header: Depth=2
	v_mov_b32_e32 v20, v18
	v_mov_b32_e32 v21, v19
	v_add_u32_e32 v32, v32, v1
	global_store_dwordx4 v[30:31], v[18:21], off
	v_add_co_u32_e32 v30, vcc, v30, v44
	v_cmp_le_i32_e64 s[18:19], s36, v32
	s_or_b64 s[72:73], s[18:19], s[72:73]
	v_addc_co_u32_e32 v31, vcc, v31, v45, vcc
	s_andn2_b64 exec, exec, s[72:73]
	s_cbranch_execnz .LBB2_69
.LBB2_70:                               ;   in Loop: Header=BB2_24 Depth=1
	s_or_b64 exec, exec, s[62:63]
	buffer_load_dword v10, off, s[0:3], s32 offset:164 ; 4-byte Folded Reload
	buffer_load_dword v11, off, s[0:3], s32 offset:168 ; 4-byte Folded Reload
	v_add_co_u32_e64 v56, s[18:19], 1, v22
	v_addc_co_u32_e64 v57, s[18:19], 0, v23, s[18:19]
	s_waitcnt vmcnt(0)
	v_add_co_u32_e32 v2, vcc, v28, v10
	buffer_store_dword v28, off, s[0:3], s32 offset:136 ; 4-byte Folded Spill
	s_nop 0
	buffer_store_dword v29, off, s[0:3], s32 offset:140 ; 4-byte Folded Spill
	v_addc_co_u32_e32 v4, vcc, v29, v11, vcc
	s_andn2_b64 vcc, exec, s[42:43]
	s_cbranch_vccnz .LBB2_440
; %bb.71:                               ;   in Loop: Header=BB2_24 Depth=1
	s_waitcnt lgkmcnt(0)
	buffer_load_dword v0, off, s[0:3], s32 offset:216 ; 4-byte Folded Reload
	s_mov_b32 s53, 2
	buffer_store_dword v2, off, s[0:3], s32 offset:188 ; 4-byte Folded Spill
	buffer_store_dword v4, off, s[0:3], s32 offset:192 ; 4-byte Folded Spill
	s_waitcnt vmcnt(2)
	v_add_co_u32_e32 v10, vcc, v0, v2
	buffer_load_dword v0, off, s[0:3], s32 offset:220 ; 4-byte Folded Reload
	s_waitcnt vmcnt(0)
	v_addc_co_u32_e32 v11, vcc, v0, v4, vcc
	buffer_store_dword v10, off, s[0:3], s32 offset:112 ; 4-byte Folded Spill
	s_nop 0
	buffer_store_dword v11, off, s[0:3], s32 offset:116 ; 4-byte Folded Spill
	v_add_u16_e32 v10, 1, v22
	s_branch .LBB2_73
.LBB2_72:                               ;   in Loop: Header=BB2_73 Depth=2
	s_or_b64 exec, exec, s[62:63]
	v_add_co_u32_e32 v36, vcc, 1, v36
	v_addc_co_u32_e32 v37, vcc, 0, v37, vcc
	s_add_i32 s53, s53, 1
	v_add_co_u32_e32 v56, vcc, 1, v56
	v_addc_co_u32_e32 v57, vcc, 0, v57, vcc
	s_cmp_eq_u32 s53, s20
	v_add_u16_e32 v10, 1, v10
	s_cbranch_scc1 .LBB2_441
.LBB2_73:                               ;   Parent Loop BB2_24 Depth=1
                                        ; =>  This Loop Header: Depth=2
                                        ;       Child Loop BB2_78 Depth 3
                                        ;       Child Loop BB2_97 Depth 3
                                        ;       Child Loop BB2_118 Depth 3
                                        ;         Child Loop BB2_126 Depth 4
                                        ;       Child Loop BB2_429 Depth 3
                                        ;       Child Loop BB2_114 Depth 3
	buffer_load_dword v18, off, s[0:3], s32 offset:68 ; 4-byte Folded Reload
	buffer_load_dword v19, off, s[0:3], s32 offset:72 ; 4-byte Folded Reload
	s_sub_i32 s26, s20, s53
	s_lshl_b64 s[18:19], s[26:27], 2
	s_waitcnt lgkmcnt(0)
	v_mov_b32_e32 v0, s19
	s_waitcnt vmcnt(1)
	v_add_co_u32_e32 v18, vcc, s18, v18
	s_waitcnt vmcnt(0)
	v_addc_co_u32_e32 v19, vcc, v19, v0, vcc
	flat_load_dword v0, v[18:19]
	s_and_saveexec_b64 s[62:63], s[6:7]
	s_cbranch_execz .LBB2_89
; %bb.74:                               ;   in Loop: Header=BB2_73 Depth=2
	v_add_co_u32_e32 v18, vcc, 1, v16
	v_addc_co_u32_e32 v19, vcc, 0, v17, vcc
	v_add_co_u32_e32 v20, vcc, 8, v54
	v_addc_co_u32_e32 v21, vcc, 0, v55, vcc
	v_cmp_lt_u64_e32 vcc, v[20:21], v[18:19]
	s_and_saveexec_b64 s[72:73], vcc
	s_cbranch_execz .LBB2_86
; %bb.75:                               ;   in Loop: Header=BB2_73 Depth=2
	s_mov_b32 s26, 0
	v_cmp_eq_u32_e32 vcc, 0, v51
	s_mov_b64 s[74:75], 0
                                        ; implicit-def: $sgpr76_sgpr77
                                        ; implicit-def: $sgpr78_sgpr79
                                        ; implicit-def: $sgpr88_sgpr89
	s_branch .LBB2_78
.LBB2_76:                               ;   in Loop: Header=BB2_78 Depth=3
	s_or_b64 exec, exec, s[34:35]
	s_andn2_b64 s[18:19], s[88:89], exec
	s_and_b64 s[88:89], s[94:95], exec
	s_or_b64 s[88:89], s[18:19], s[88:89]
	s_andn2_b64 s[18:19], s[78:79], exec
	s_and_b64 s[78:79], s[92:93], exec
	v_mov_b32_e32 v4, 0
	s_or_b64 s[78:79], s[18:19], s[78:79]
.LBB2_77:                               ;   in Loop: Header=BB2_78 Depth=3
	s_or_b64 exec, exec, s[90:91]
	s_and_b64 s[18:19], exec, s[78:79]
	s_or_b64 s[74:75], s[18:19], s[74:75]
	s_andn2_b64 s[18:19], s[76:77], exec
	s_and_b64 s[76:77], s[88:89], exec
	s_or_b64 s[76:77], s[18:19], s[76:77]
	s_andn2_b64 exec, exec, s[74:75]
	s_cbranch_execz .LBB2_83
.LBB2_78:                               ;   Parent Loop BB2_24 Depth=1
                                        ;     Parent Loop BB2_73 Depth=2
                                        ; =>    This Inner Loop Header: Depth=3
	s_sleep 1
	s_waitcnt vmcnt(0) lgkmcnt(0)
	flat_load_dwordx2 v[54:55], v[52:53] glc
	s_or_b64 s[88:89], s[88:89], exec
	s_or_b64 s[78:79], s[78:79], exec
	v_mov_b32_e32 v4, v51
                                        ; implicit-def: $vgpr2
	s_and_saveexec_b64 s[90:91], vcc
	s_cbranch_execz .LBB2_77
; %bb.79:                               ;   in Loop: Header=BB2_78 Depth=3
	s_add_i32 s26, s26, 1
	s_cmpk_lg_i32 s26, 0x2710
	s_cselect_b64 s[30:31], -1, 0
	s_cmpk_eq_i32 s26, 0x2710
	s_mov_b64 s[92:93], -1
	s_mov_b64 s[94:95], -1
                                        ; implicit-def: $vgpr2
	s_cbranch_scc1 .LBB2_81
; %bb.80:                               ;   in Loop: Header=BB2_78 Depth=3
	s_and_saveexec_b64 s[34:35], s[30:31]
	s_cbranch_execz .LBB2_76
	s_branch .LBB2_82
.LBB2_81:                               ;   in Loop: Header=BB2_78 Depth=3
	s_trap 2
	s_waitcnt vmcnt(0) lgkmcnt(0)
	ds_read_b64 v[20:21], v0
	s_andn2_b64 s[30:31], s[30:31], exec
	s_mov_b32 s26, 0
	s_mov_b64 s[94:95], 0
	s_waitcnt lgkmcnt(0)
	flat_load_dword v2, v[20:21] glc
	s_waitcnt vmcnt(0) lgkmcnt(0)
	buffer_wbinvl1_vol
	v_cmp_eq_u32_e64 s[18:19], 0, v2
	s_and_b64 s[18:19], s[18:19], exec
	s_or_b64 s[30:31], s[30:31], s[18:19]
	s_and_saveexec_b64 s[34:35], s[30:31]
	s_cbranch_execz .LBB2_76
.LBB2_82:                               ;   in Loop: Header=BB2_78 Depth=3
	s_waitcnt vmcnt(0) lgkmcnt(0)
	v_add_co_u32_e64 v20, s[18:19], 8, v54
	v_addc_co_u32_e64 v21, s[18:19], 0, v55, s[18:19]
	v_cmp_ge_u64_e64 s[18:19], v[20:21], v[18:19]
	s_or_b64 s[94:95], s[94:95], exec
	s_orn2_b64 s[92:93], s[18:19], exec
	s_branch .LBB2_76
.LBB2_83:                               ;   in Loop: Header=BB2_73 Depth=2
	s_or_b64 exec, exec, s[74:75]
	s_xor_b64 s[18:19], s[76:77], -1
	s_and_saveexec_b64 s[74:75], s[18:19]
	s_xor_b64 s[18:19], exec, s[74:75]
	s_cbranch_execz .LBB2_85
; %bb.84:                               ;   in Loop: Header=BB2_73 Depth=2
	v_mov_b32_e32 v4, 1
	s_waitcnt vmcnt(0) lgkmcnt(0)
	ds_write_b32 v0, v2
	s_trap 2
.LBB2_85:                               ;   in Loop: Header=BB2_73 Depth=2
	s_or_b64 exec, exec, s[18:19]
	v_mov_b32_e32 v51, v4
.LBB2_86:                               ;   in Loop: Header=BB2_73 Depth=2
	s_or_b64 exec, exec, s[72:73]
	s_and_saveexec_b64 s[18:19], s[8:9]
	s_cbranch_execz .LBB2_88
; %bb.87:                               ;   in Loop: Header=BB2_73 Depth=2
	v_and_b32_e32 v2, 0x7ffffff8, v16
	v_cmp_eq_u64_e32 vcc, s[44:45], v[2:3]
	buffer_load_dword v2, off, s[0:3], s32 offset:120 ; 4-byte Folded Reload
	v_and_b32_e32 v4, 7, v16
	v_mad_u64_u32 v[16:17], s[72:73], v4, 24, v[14:15]
	v_mov_b32_e32 v4, s21
	s_waitcnt vmcnt(0)
	v_cndmask_b32_e32 v20, v2, v4, vcc
	v_ashrrev_i32_e32 v21, 31, v20
	flat_store_dwordx2 v[16:17], v[20:21] offset:8
	s_waitcnt vmcnt(0)
.LBB2_88:                               ;   in Loop: Header=BB2_73 Depth=2
	s_or_b64 exec, exec, s[18:19]
	v_mov_b32_e32 v16, v18
	v_mov_b32_e32 v17, v19
.LBB2_89:                               ;   in Loop: Header=BB2_73 Depth=2
	s_or_b64 exec, exec, s[62:63]
	s_and_saveexec_b64 s[18:19], s[10:11]
	s_cbranch_execz .LBB2_108
; %bb.90:                               ;   in Loop: Header=BB2_73 Depth=2
	s_and_saveexec_b64 s[62:63], s[40:41]
	s_xor_b64 s[62:63], exec, s[62:63]
	s_cbranch_execz .LBB2_105
; %bb.91:                               ;   in Loop: Header=BB2_73 Depth=2
	s_and_saveexec_b64 s[72:73], s[12:13]
	s_cbranch_execz .LBB2_104
; %bb.92:                               ;   in Loop: Header=BB2_73 Depth=2
	s_mov_b64 s[76:77], exec
	v_mbcnt_lo_u32_b32 v2, s76, 0
	v_mbcnt_hi_u32_b32 v2, s77, v2
	v_cmp_eq_u32_e32 vcc, 0, v2
	s_waitcnt vmcnt(0) lgkmcnt(0)
	buffer_wbinvl1_vol
	s_and_saveexec_b64 s[74:75], vcc
	s_cbranch_execz .LBB2_94
; %bb.93:                               ;   in Loop: Header=BB2_73 Depth=2
	s_bcnt1_i32_b64 s26, s[76:77]
	v_mov_b32_e32 v2, s26
	ds_add_u64 v0, v[2:3]
	s_trap 2
.LBB2_94:                               ;   in Loop: Header=BB2_73 Depth=2
	s_or_b64 exec, exec, s[74:75]
	s_trap 2
	ds_read_b64 v[18:19], v0
	s_waitcnt lgkmcnt(0)
	buffer_load_dword v2, off, s[0:3], s32 offset:124 ; 4-byte Folded Reload
	s_waitcnt vmcnt(0)
	v_add_co_u32_e32 v42, vcc, v42, v2
	v_addc_co_u32_e32 v43, vcc, 0, v43, vcc
	v_cmp_lt_u64_e32 vcc, v[18:19], v[42:43]
	s_and_saveexec_b64 s[74:75], vcc
	s_cbranch_execz .LBB2_103
; %bb.95:                               ;   in Loop: Header=BB2_73 Depth=2
	s_mov_b32 s26, 0
	s_mov_b64 s[76:77], 0
                                        ; implicit-def: $sgpr78_sgpr79
                                        ; implicit-def: $sgpr88_sgpr89
	s_branch .LBB2_97
.LBB2_96:                               ;   in Loop: Header=BB2_97 Depth=3
	s_or_b64 exec, exec, s[92:93]
	s_and_b64 s[90:91], exec, s[94:95]
	s_or_b64 s[76:77], s[90:91], s[76:77]
	s_andn2_b64 s[78:79], s[78:79], exec
	s_and_b64 s[90:91], s[88:89], exec
	s_or_b64 s[78:79], s[78:79], s[90:91]
	s_andn2_b64 exec, exec, s[76:77]
	s_cbranch_execz .LBB2_101
.LBB2_97:                               ;   Parent Loop BB2_24 Depth=1
                                        ;     Parent Loop BB2_73 Depth=2
                                        ; =>    This Inner Loop Header: Depth=3
	s_add_i32 s26, s26, 1
	s_cmpk_lg_i32 s26, 0x2710
	s_cselect_b64 s[90:91], -1, 0
	s_and_b64 vcc, exec, s[90:91]
	s_cbranch_vccz .LBB2_99
; %bb.98:                               ;   in Loop: Header=BB2_97 Depth=3
	s_mov_b64 s[94:95], -1
	s_or_b64 s[88:89], s[88:89], exec
	s_and_saveexec_b64 s[92:93], s[90:91]
	s_cbranch_execz .LBB2_96
	s_branch .LBB2_100
.LBB2_99:                               ;   in Loop: Header=BB2_97 Depth=3
	s_trap 2
	ds_read_b64 v[18:19], v0
	s_andn2_b64 s[90:91], s[90:91], exec
	s_mov_b32 s26, 0
	s_waitcnt lgkmcnt(0)
	flat_load_dword v2, v[18:19] glc
	s_waitcnt vmcnt(0) lgkmcnt(0)
	buffer_wbinvl1_vol
	v_cmp_eq_u32_e32 vcc, 0, v2
	s_and_b64 s[92:93], vcc, exec
	s_or_b64 s[90:91], s[90:91], s[92:93]
	s_mov_b64 s[94:95], -1
	s_or_b64 s[88:89], s[88:89], exec
	s_and_saveexec_b64 s[92:93], s[90:91]
	s_cbranch_execz .LBB2_96
.LBB2_100:                              ;   in Loop: Header=BB2_97 Depth=3
	s_sleep 1
	s_trap 2
	ds_read_b64 v[18:19], v0
	s_waitcnt lgkmcnt(0)
	s_andn2_b64 s[88:89], s[88:89], exec
	v_cmp_ge_u64_e32 vcc, v[18:19], v[42:43]
	s_orn2_b64 s[94:95], vcc, exec
	s_branch .LBB2_96
.LBB2_101:                              ;   in Loop: Header=BB2_73 Depth=2
	s_or_b64 exec, exec, s[76:77]
	s_and_saveexec_b64 s[76:77], s[78:79]
	s_xor_b64 s[76:77], exec, s[76:77]
	s_cbranch_execz .LBB2_103
; %bb.102:                              ;   in Loop: Header=BB2_73 Depth=2
	v_mov_b32_e32 v2, 1
	ds_write_b32 v0, v2
	s_trap 2
.LBB2_103:                              ;   in Loop: Header=BB2_73 Depth=2
	s_or_b64 exec, exec, s[74:75]
	;;#ASMSTART
	s_wakeup
	;;#ASMEND
.LBB2_104:                              ;   in Loop: Header=BB2_73 Depth=2
	s_or_b64 exec, exec, s[72:73]
.LBB2_105:                              ;   in Loop: Header=BB2_73 Depth=2
	s_andn2_saveexec_b64 s[62:63], s[62:63]
	s_cbranch_execz .LBB2_107
; %bb.106:                              ;   in Loop: Header=BB2_73 Depth=2
	s_waitcnt vmcnt(0) lgkmcnt(0)
	buffer_wbinvl1_vol
	s_barrier
.LBB2_107:                              ;   in Loop: Header=BB2_73 Depth=2
	s_or_b64 exec, exec, s[62:63]
.LBB2_108:                              ;   in Loop: Header=BB2_73 Depth=2
	s_or_b64 exec, exec, s[18:19]
	buffer_load_dword v60, off, s[0:3], s32 offset:60 ; 4-byte Folded Reload
	buffer_load_dword v61, off, s[0:3], s32 offset:64 ; 4-byte Folded Reload
	v_add_u32_e32 v19, 1, v56
	s_and_saveexec_b64 s[62:63], s[16:17]
	s_cbranch_execnz .LBB2_115
; %bb.109:                              ;   in Loop: Header=BB2_73 Depth=2
	s_or_b64 exec, exec, s[62:63]
	s_and_saveexec_b64 s[18:19], s[10:11]
	s_cbranch_execnz .LBB2_422
.LBB2_110:                              ;   in Loop: Header=BB2_73 Depth=2
	s_or_b64 exec, exec, s[18:19]
	s_and_saveexec_b64 s[18:19], s[14:15]
	s_cbranch_execz .LBB2_112
.LBB2_111:                              ;   in Loop: Header=BB2_73 Depth=2
	buffer_load_dword v20, off, s[0:3], s32 offset:96 ; 4-byte Folded Reload
	buffer_load_dword v21, off, s[0:3], s32 offset:100 ; 4-byte Folded Reload
	v_add_co_u32_e32 v48, vcc, 1, v48
	v_addc_co_u32_e32 v49, vcc, 0, v49, vcc
	s_waitcnt vmcnt(0)
	flat_store_dwordx2 v[20:21], v[48:49]
.LBB2_112:                              ;   in Loop: Header=BB2_73 Depth=2
	s_or_b64 exec, exec, s[18:19]
	v_and_b32_e32 v2, 0x7ffffff8, v56
	v_cmp_eq_u64_e32 vcc, s[44:45], v[2:3]
	s_waitcnt vmcnt(0)
	v_cmp_gt_i32_e64 s[18:19], s36, v60
	s_and_b64 s[18:19], vcc, s[18:19]
	s_and_saveexec_b64 s[62:63], s[18:19]
	s_cbranch_execz .LBB2_72
; %bb.113:                              ;   in Loop: Header=BB2_73 Depth=2
	s_waitcnt lgkmcnt(0)
	v_and_b32_e32 v0, 7, v10
	v_mul_lo_u32 v20, s36, v0
	v_ashrrev_i32_e32 v61, 31, v60
	v_lshlrev_b64 v[22:23], 4, v[60:61]
	v_mov_b32_e32 v18, v3
	v_ashrrev_i32_e32 v21, 31, v20
	v_lshlrev_b64 v[20:21], 4, v[20:21]
	s_mov_b64 s[72:73], 0
	v_add_co_u32_e32 v0, vcc, v22, v20
	v_addc_co_u32_e32 v2, vcc, v23, v21, vcc
	buffer_load_dword v20, off, s[0:3], s32 offset:76 ; 4-byte Folded Reload
	buffer_load_dword v21, off, s[0:3], s32 offset:80 ; 4-byte Folded Reload
	s_waitcnt vmcnt(1)
	v_add_co_u32_e32 v22, vcc, v20, v0
	s_waitcnt vmcnt(0)
	v_addc_co_u32_e32 v23, vcc, v21, v2, vcc
.LBB2_114:                              ;   Parent Loop BB2_24 Depth=1
                                        ;     Parent Loop BB2_73 Depth=2
                                        ; =>    This Inner Loop Header: Depth=3
	v_mov_b32_e32 v20, v18
	v_mov_b32_e32 v21, v19
	v_add_u32_e32 v60, v60, v1
	global_store_dwordx4 v[22:23], v[18:21], off
	v_add_co_u32_e32 v22, vcc, v22, v44
	v_cmp_le_i32_e64 s[18:19], s36, v60
	s_or_b64 s[72:73], s[18:19], s[72:73]
	v_addc_co_u32_e32 v23, vcc, v23, v45, vcc
	s_andn2_b64 exec, exec, s[72:73]
	s_cbranch_execnz .LBB2_114
	s_branch .LBB2_72
.LBB2_115:                              ;   in Loop: Header=BB2_73 Depth=2
	buffer_load_dword v4, off, s[0:3], s32 offset:88 ; 4-byte Folded Reload
	buffer_load_dword v20, off, s[0:3], s32 offset:112 ; 4-byte Folded Reload
	buffer_load_dword v21, off, s[0:3], s32 offset:116 ; 4-byte Folded Reload
	buffer_load_dword v6, off, s[0:3], s32 offset:92 ; 4-byte Folded Reload
	buffer_load_dword v23, off, s[0:3], s32 offset:104 ; 4-byte Folded Reload
	buffer_load_dword v24, off, s[0:3], s32 offset:108 ; 4-byte Folded Reload
	s_waitcnt vmcnt(0) lgkmcnt(0)
	v_ashrrev_i32_e32 v2, 31, v0
	v_add_u32_e32 v34, 1, v36
	s_mov_b64 s[72:73], 0
	v_mov_b32_e32 v47, v7
	v_mul_lo_u32 v2, v4, v2
	v_mad_u64_u32 v[32:33], s[18:19], v4, v0, v[20:21]
	v_mul_lo_u32 v0, v6, v0
	v_and_b32_e32 v4, 7, v36
	v_mul_lo_u32 v20, v4, s36
	v_add3_u32 v33, v0, v33, v2
	v_and_b32_e32 v0, 7, v56
	v_mul_lo_u32 v22, v0, s36
	v_ashrrev_i32_e32 v21, 31, v20
	v_lshlrev_b64 v[20:21], 4, v[20:21]
	v_add_co_u32_e32 v11, vcc, v23, v20
	v_ashrrev_i32_e32 v23, 31, v22
	v_addc_co_u32_e32 v26, vcc, v24, v21, vcc
	v_lshlrev_b64 v[20:21], 4, v[22:23]
	buffer_load_dword v22, off, s[0:3], s32 offset:76 ; 4-byte Folded Reload
	buffer_load_dword v23, off, s[0:3], s32 offset:80 ; 4-byte Folded Reload
	;; [unrolled: 1-line block ×4, first 2 shown]
	s_waitcnt vmcnt(3)
	v_add_co_u32_e32 v35, vcc, v22, v20
	s_waitcnt vmcnt(2)
	v_addc_co_u32_e32 v46, vcc, v23, v21, vcc
	s_branch .LBB2_118
.LBB2_116:                              ;   in Loop: Header=BB2_118 Depth=3
	s_or_b64 exec, exec, s[74:75]
.LBB2_117:                              ;   in Loop: Header=BB2_118 Depth=3
	s_or_b64 exec, exec, s[18:19]
	v_add_co_u32_e32 v32, vcc, v32, v13
	v_addc_co_u32_e32 v33, vcc, 0, v33, vcc
	v_lshlrev_b32_e32 v0, 8, v6
	v_lshlrev_b32_e32 v2, 16, v58
	v_add_co_u32_e32 v22, vcc, v35, v61
	v_or3_b32 v0, v0, v18, v2
	v_lshlrev_b32_e32 v6, 8, v23
	v_lshlrev_b32_e32 v18, 16, v24
	v_addc_co_u32_e32 v23, vcc, v46, v62, vcc
	v_sub_u32_e32 v47, v47, v13
	v_lshlrev_b32_e32 v2, 24, v30
	v_lshlrev_b32_e32 v20, 24, v20
	v_or3_b32 v4, v6, v4, v18
	v_cmp_gt_i32_e32 vcc, 1, v47
	v_or3_b32 v18, v0, v2, 0
	v_or3_b32 v20, v4, v20, 0
	v_mov_b32_e32 v21, v19
	s_or_b64 s[72:73], vcc, s[72:73]
	v_add_u32_e32 v60, v60, v1
	global_store_dwordx4 v[22:23], v[18:21], off
	s_andn2_b64 exec, exec, s[72:73]
	s_cbranch_execz .LBB2_421
.LBB2_118:                              ;   Parent Loop BB2_24 Depth=1
                                        ;     Parent Loop BB2_73 Depth=2
                                        ; =>    This Loop Header: Depth=3
                                        ;         Child Loop BB2_126 Depth 4
	v_and_b32_e32 v20, -4, v32
	v_mov_b32_e32 v21, v33
	global_load_dword v0, v[20:21], off glc slc
	v_min_u32_e32 v2, 8, v47
	v_and_b32_e32 v4, 3, v32
	v_add_u32_e32 v2, v4, v2
	v_cmp_lt_u32_e32 vcc, 4, v2
	v_mov_b32_e32 v59, 0
	v_mov_b32_e32 v4, 0
	s_and_saveexec_b64 s[18:19], vcc
	s_cbranch_execz .LBB2_120
; %bb.119:                              ;   in Loop: Header=BB2_118 Depth=3
	global_load_dword v4, v[20:21], off offset:4 glc slc
.LBB2_120:                              ;   in Loop: Header=BB2_118 Depth=3
	s_or_b64 exec, exec, s[18:19]
	v_cmp_lt_u64_e32 vcc, 8, v[2:3]
	s_and_saveexec_b64 s[18:19], vcc
	s_cbranch_execz .LBB2_122
; %bb.121:                              ;   in Loop: Header=BB2_118 Depth=3
	global_load_dword v59, v[20:21], off offset:8 glc slc
.LBB2_122:                              ;   in Loop: Header=BB2_118 Depth=3
	s_or_b64 exec, exec, s[18:19]
	s_waitcnt vmcnt(1)
	v_ashrrev_i32_e32 v61, 31, v60
	v_lshlrev_b64 v[61:62], 4, v[60:61]
	v_add_co_u32_e32 v30, vcc, v11, v61
	v_addc_co_u32_e32 v31, vcc, v26, v62, vcc
	global_load_dwordx4 v[20:23], v[30:31], off glc slc
	v_cmp_eq_u32_e32 vcc, 0, v51
	s_and_saveexec_b64 s[74:75], vcc
	s_cbranch_execz .LBB2_134
; %bb.123:                              ;   in Loop: Header=BB2_118 Depth=3
	s_waitcnt vmcnt(0)
	v_cmp_ne_u32_e32 vcc, v34, v21
	v_cmp_ne_u32_e64 s[18:19], v34, v23
	s_or_b64 s[18:19], vcc, s[18:19]
	v_mov_b32_e32 v51, 0
	s_and_saveexec_b64 s[76:77], s[18:19]
	s_cbranch_execz .LBB2_133
; %bb.124:                              ;   in Loop: Header=BB2_118 Depth=3
	s_mov_b32 s26, 1
	s_mov_b64 s[88:89], 0
                                        ; implicit-def: $sgpr78_sgpr79
                                        ; implicit-def: $sgpr90_sgpr91
	s_branch .LBB2_126
.LBB2_125:                              ;   in Loop: Header=BB2_126 Depth=4
	s_or_b64 exec, exec, s[94:95]
	s_and_b64 s[18:19], exec, s[18:19]
	s_or_b64 s[88:89], s[18:19], s[88:89]
	s_andn2_b64 s[18:19], s[78:79], exec
	s_and_b64 s[78:79], s[90:91], exec
	s_or_b64 s[78:79], s[18:19], s[78:79]
	s_andn2_b64 exec, exec, s[88:89]
	s_cbranch_execz .LBB2_130
.LBB2_126:                              ;   Parent Loop BB2_24 Depth=1
                                        ;     Parent Loop BB2_73 Depth=2
                                        ;       Parent Loop BB2_118 Depth=3
                                        ; =>      This Inner Loop Header: Depth=4
	global_load_dwordx4 v[20:23], v[30:31], off glc slc
	s_add_i32 s26, s26, 1
	s_mov_b64 s[18:19], -1
	s_cmpk_lg_i32 s26, 0x2710
	s_mov_b64 s[92:93], -1
                                        ; implicit-def: $vgpr2
	s_cbranch_scc0 .LBB2_128
; %bb.127:                              ;   in Loop: Header=BB2_126 Depth=4
	s_or_b64 s[90:91], s[90:91], exec
	s_and_saveexec_b64 s[94:95], s[92:93]
	s_cbranch_execz .LBB2_125
	s_branch .LBB2_129
.LBB2_128:                              ;   in Loop: Header=BB2_126 Depth=4
	s_trap 2
	ds_read_b64 v[24:25], v0
	s_mov_b32 s26, 0
	s_waitcnt vmcnt(0) lgkmcnt(0)
	flat_load_dword v2, v[24:25] glc
	s_waitcnt vmcnt(0) lgkmcnt(0)
	buffer_wbinvl1_vol
	v_cmp_eq_u32_e32 vcc, 0, v2
	s_orn2_b64 s[92:93], vcc, exec
	s_or_b64 s[90:91], s[90:91], exec
	s_and_saveexec_b64 s[94:95], s[92:93]
	s_cbranch_execz .LBB2_125
.LBB2_129:                              ;   in Loop: Header=BB2_126 Depth=4
	s_waitcnt vmcnt(0)
	v_cmp_eq_u32_e32 vcc, v34, v21
	v_cmp_eq_u32_e64 s[18:19], v34, v23
	s_and_b64 s[18:19], vcc, s[18:19]
	s_andn2_b64 s[90:91], s[90:91], exec
	s_orn2_b64 s[18:19], s[18:19], exec
	s_branch .LBB2_125
.LBB2_130:                              ;   in Loop: Header=BB2_118 Depth=3
	s_or_b64 exec, exec, s[88:89]
	v_mov_b32_e32 v51, 0
	s_and_saveexec_b64 s[18:19], s[78:79]
	s_xor_b64 s[18:19], exec, s[18:19]
	s_cbranch_execz .LBB2_132
; %bb.131:                              ;   in Loop: Header=BB2_118 Depth=3
	v_mov_b32_e32 v51, 1
	ds_write_b32 v0, v2
	s_trap 2
.LBB2_132:                              ;   in Loop: Header=BB2_118 Depth=3
	s_or_b64 exec, exec, s[18:19]
.LBB2_133:                              ;   in Loop: Header=BB2_118 Depth=3
	s_or_b64 exec, exec, s[76:77]
.LBB2_134:                              ;   in Loop: Header=BB2_118 Depth=3
	s_or_b64 exec, exec, s[74:75]
	s_waitcnt vmcnt(0)
	v_cmp_ne_u16_sdwa s[74:75], v20, v3 src0_sel:BYTE_0 src1_sel:DWORD
	v_mov_b32_e32 v6, 0
	v_mov_b32_e32 v18, 0
	s_and_saveexec_b64 s[18:19], s[74:75]
	s_cbranch_execz .LBB2_142
; %bb.135:                              ;   in Loop: Header=BB2_118 Depth=3
	v_cmp_ne_u16_sdwa s[76:77], sext(v20), s38 src0_sel:BYTE_0 src1_sel:DWORD
	v_bfrev_b32_e32 v18, 1
	s_and_saveexec_b64 s[74:75], s[76:77]
	s_cbranch_execz .LBB2_141
; %bb.136:                              ;   in Loop: Header=BB2_118 Depth=3
	v_and_b32_e32 v18, 0x7c, v20
	v_and_b32_e32 v2, 3, v20
	v_cmp_ne_u32_e32 vcc, s39, v18
                                        ; implicit-def: $vgpr18
	s_and_saveexec_b64 s[76:77], vcc
	s_xor_b64 s[76:77], exec, s[76:77]
	s_cbranch_execz .LBB2_138
; %bb.137:                              ;   in Loop: Header=BB2_118 Depth=3
	v_ffbh_u32_e32 v24, v2
	v_min_u32_e32 v28, 32, v24
	v_bfe_u32 v18, v20, 2, 5
	v_subrev_u32_e32 v24, 29, v28
	v_lshlrev_b64 v[24:25], v24, v[20:21]
	v_sub_u32_e32 v21, 30, v28
	v_cmp_eq_u32_e32 vcc, 0, v18
	v_cndmask_b32_e32 v18, v18, v21, vcc
	v_lshlrev_b32_e32 v21, 24, v20
	v_and_b32_e32 v24, 3, v24
	v_and_b32_e32 v21, 0x80000000, v21
	v_cndmask_b32_e32 v2, v2, v24, vcc
	v_lshl_add_u32 v18, v18, 23, v21
	v_lshl_or_b32 v2, v2, 21, v18
	v_add_u32_e32 v18, 0x38000000, v2
                                        ; implicit-def: $vgpr2
.LBB2_138:                              ;   in Loop: Header=BB2_118 Depth=3
	s_andn2_saveexec_b64 s[76:77], s[76:77]
; %bb.139:                              ;   in Loop: Header=BB2_118 Depth=3
	v_cmp_gt_i16_sdwa vcc, sext(v20), v27 src0_sel:BYTE_0 src1_sel:DWORD
	v_cndmask_b32_e32 v18, v5, v8, vcc
	v_cmp_eq_u32_e32 vcc, 0, v2
	v_cndmask_b32_e32 v18, v9, v18, vcc
; %bb.140:                              ;   in Loop: Header=BB2_118 Depth=3
	s_or_b64 exec, exec, s[76:77]
.LBB2_141:                              ;   in Loop: Header=BB2_118 Depth=3
	s_or_b64 exec, exec, s[74:75]
.LBB2_142:                              ;   in Loop: Header=BB2_118 Depth=3
	s_or_b64 exec, exec, s[18:19]
	v_lshlrev_b32_e32 v24, 3, v32
	v_alignbit_b32 v2, v4, v0, v24
	v_cmp_ne_u16_sdwa s[74:75], v2, v3 src0_sel:BYTE_0 src1_sel:DWORD
	s_and_saveexec_b64 s[18:19], s[74:75]
	s_cbranch_execz .LBB2_150
; %bb.143:                              ;   in Loop: Header=BB2_118 Depth=3
	v_cmp_ne_u16_sdwa s[76:77], sext(v2), s38 src0_sel:BYTE_0 src1_sel:DWORD
	v_bfrev_b32_e32 v6, 1
	s_and_saveexec_b64 s[74:75], s[76:77]
	s_cbranch_execz .LBB2_149
; %bb.144:                              ;   in Loop: Header=BB2_118 Depth=3
	v_and_b32_e32 v6, 0x7c, v2
	v_and_b32_e32 v0, 3, v2
	v_cmp_ne_u32_e32 vcc, s39, v6
                                        ; implicit-def: $vgpr6
	s_and_saveexec_b64 s[76:77], vcc
	s_xor_b64 s[76:77], exec, s[76:77]
	s_cbranch_execz .LBB2_146
; %bb.145:                              ;   in Loop: Header=BB2_118 Depth=3
	v_ffbh_u32_e32 v21, v0
	v_min_u32_e32 v21, 32, v21
	v_bfe_u32 v6, v2, 2, 5
	v_subrev_u32_e32 v25, 29, v21
	v_lshlrev_b64 v[28:29], v25, v[2:3]
	v_sub_u32_e32 v21, 30, v21
	v_cmp_eq_u32_e32 vcc, 0, v6
	v_cndmask_b32_e32 v6, v6, v21, vcc
	v_lshlrev_b32_e32 v21, 24, v2
	v_and_b32_e32 v25, 3, v28
	v_and_b32_e32 v21, 0x80000000, v21
	v_cndmask_b32_e32 v0, v0, v25, vcc
	v_lshl_add_u32 v6, v6, 23, v21
	v_lshl_or_b32 v0, v0, 21, v6
	v_add_u32_e32 v6, 0x38000000, v0
                                        ; implicit-def: $vgpr0
.LBB2_146:                              ;   in Loop: Header=BB2_118 Depth=3
	s_andn2_saveexec_b64 s[76:77], s[76:77]
; %bb.147:                              ;   in Loop: Header=BB2_118 Depth=3
	v_cmp_gt_i16_sdwa vcc, sext(v2), v27 src0_sel:BYTE_0 src1_sel:DWORD
	v_cndmask_b32_e32 v6, v5, v8, vcc
	v_cmp_eq_u32_e32 vcc, 0, v0
	v_cndmask_b32_e32 v6, v9, v6, vcc
; %bb.148:                              ;   in Loop: Header=BB2_118 Depth=3
	s_or_b64 exec, exec, s[76:77]
.LBB2_149:                              ;   in Loop: Header=BB2_118 Depth=3
	s_or_b64 exec, exec, s[74:75]
.LBB2_150:                              ;   in Loop: Header=BB2_118 Depth=3
	s_or_b64 exec, exec, s[18:19]
	v_mul_f32_e32 v6, v18, v6
	v_and_b32_e32 v28, 0x7f800000, v6
	v_mov_b32_e32 v29, v3
	v_cmp_ne_u64_e32 vcc, s[56:57], v[28:29]
	v_and_b32_e32 v30, 0x7fffff, v6
	v_mov_b32_e32 v31, v3
                                        ; implicit-def: $vgpr18
	s_and_saveexec_b64 s[18:19], vcc
	s_xor_b64 s[74:75], exec, s[18:19]
	s_cbranch_execz .LBB2_164
; %bb.151:                              ;   in Loop: Header=BB2_118 Depth=3
	v_and_b32_e32 v28, 0x7fffffff, v6
	v_mov_b32_e32 v29, v3
	v_cmp_gt_u64_e32 vcc, s[58:59], v[28:29]
	v_and_b32_sdwa v0, v6, s48 dst_sel:DWORD dst_unused:UNUSED_PAD src0_sel:BYTE_3 src1_sel:DWORD
                                        ; implicit-def: $vgpr18
	s_and_saveexec_b64 s[18:19], vcc
	s_xor_b64 s[76:77], exec, s[18:19]
	s_cbranch_execz .LBB2_161
; %bb.152:                              ;   in Loop: Header=BB2_118 Depth=3
	v_mov_b32_e32 v18, 0
	v_cmp_ne_u32_e32 vcc, 0, v6
	s_and_saveexec_b64 s[78:79], vcc
	s_cbranch_execz .LBB2_160
; %bb.153:                              ;   in Loop: Header=BB2_118 Depth=3
	v_bfe_u32 v6, v6, 23, 8
	v_cmp_gt_u32_e64 s[18:19], s49, v6
	v_sub_u32_e32 v18, 0x71, v6
	v_cmp_eq_u32_e32 vcc, 0, v6
	v_cndmask_b32_e64 v18, 0, v18, s[18:19]
	v_or_b32_e32 v21, 0x800000, v30
	v_cndmask_b32_e32 v18, v18, v40, vcc
	v_cndmask_b32_e32 v30, v21, v30, vcc
	v_add_u32_e32 v21, 21, v18
	v_lshlrev_b64 v[28:29], v21, -1
	v_add_u32_e32 v21, 20, v18
	v_lshlrev_b64 v[38:39], v21, 1
	v_bfi_b32 v29, v29, 0, 0
	v_bfi_b32 v28, v28, 0, v30
	v_lshrrev_b64 v[30:31], v18, v[30:31]
	v_cmp_eq_u64_e64 s[18:19], v[28:29], v[38:39]
	v_mov_b32_e32 v28, v30
	v_mov_b32_e32 v29, v31
	s_and_saveexec_b64 s[88:89], s[18:19]
; %bb.154:                              ;   in Loop: Header=BB2_118 Depth=3
	v_bfe_u32 v21, v30, 21, 1
	v_add_co_u32_e64 v21, s[18:19], v30, v21
	v_add_co_u32_e64 v28, s[18:19], -1, v21
; %bb.155:                              ;   in Loop: Header=BB2_118 Depth=3
	s_or_b64 exec, exec, s[88:89]
	v_add_u32_e32 v6, 0xffffff81, v6
	v_cndmask_b32_e32 v6, v6, v41, vcc
	v_lshrrev_b32_e32 v21, 23, v30
	v_add3_u32 v21, v18, v6, v21
	v_add_u32_e32 v18, 14, v21
	v_and_b32_e32 v6, 0x1fffff, v28
	v_add_u32_e32 v30, v6, v30
	v_mov_b32_e32 v31, v3
	v_cmp_ne_u32_e32 vcc, 0, v18
                                        ; implicit-def: $vgpr6
	s_and_saveexec_b64 s[18:19], vcc
	s_xor_b64 s[18:19], exec, s[18:19]
; %bb.156:                              ;   in Loop: Header=BB2_118 Depth=3
	v_cmp_lt_u64_e32 vcc, s[60:61], v[30:31]
	v_add_u32_e32 v6, 15, v21
	v_cndmask_b32_e32 v6, v18, v6, vcc
	v_cndmask_b32_e64 v18, 0, 1, vcc
	v_lshrrev_b64 v[30:31], v18, v[30:31]
; %bb.157:                              ;   in Loop: Header=BB2_118 Depth=3
	s_andn2_saveexec_b64 s[18:19], s[18:19]
; %bb.158:                              ;   in Loop: Header=BB2_118 Depth=3
	v_bfe_u32 v6, v30, 23, 1
; %bb.159:                              ;   in Loop: Header=BB2_118 Depth=3
	s_or_b64 exec, exec, s[18:19]
	v_lshrrev_b64 v[28:29], 21, v[30:31]
	v_cmp_gt_i32_e32 vcc, 32, v6
	v_cndmask_b32_e32 v29, 0, v29, vcc
	v_cndmask_b32_e32 v28, 3, v28, vcc
	v_cmp_eq_u32_e32 vcc, 0, v6
	v_min_i32_e32 v6, 31, v6
	v_cmp_eq_u64_e64 s[18:19], 0, v[28:29]
	v_lshlrev_b32_e32 v6, 2, v6
	v_and_b32_e32 v6, 0xfc, v6
	v_and_or_b32 v6, v28, 3, v6
	s_and_b64 s[18:19], vcc, s[18:19]
	v_cndmask_b32_e64 v6, v6, 0, s[18:19]
	v_or_b32_e32 v18, v6, v0
.LBB2_160:                              ;   in Loop: Header=BB2_118 Depth=3
	s_or_b64 exec, exec, s[78:79]
                                        ; implicit-def: $vgpr0
.LBB2_161:                              ;   in Loop: Header=BB2_118 Depth=3
	s_andn2_saveexec_b64 s[18:19], s[76:77]
; %bb.162:                              ;   in Loop: Header=BB2_118 Depth=3
	v_or_b32_e32 v18, 0x7b, v0
; %bb.163:                              ;   in Loop: Header=BB2_118 Depth=3
	s_or_b64 exec, exec, s[18:19]
                                        ; implicit-def: $vgpr6
                                        ; implicit-def: $vgpr30_vgpr31
.LBB2_164:                              ;   in Loop: Header=BB2_118 Depth=3
	s_andn2_saveexec_b64 s[18:19], s[74:75]
	s_cbranch_execz .LBB2_170
; %bb.165:                              ;   in Loop: Header=BB2_118 Depth=3
	v_cmp_ne_u64_e32 vcc, 0, v[30:31]
                                        ; implicit-def: $vgpr18
	s_and_saveexec_b64 s[74:75], vcc
	s_xor_b64 s[74:75], exec, s[74:75]
; %bb.166:                              ;   in Loop: Header=BB2_118 Depth=3
	v_or_b32_sdwa v18, v6, s50 dst_sel:DWORD dst_unused:UNUSED_PAD src0_sel:BYTE_3 src1_sel:DWORD
                                        ; implicit-def: $vgpr6
; %bb.167:                              ;   in Loop: Header=BB2_118 Depth=3
	s_andn2_saveexec_b64 s[74:75], s[74:75]
; %bb.168:                              ;   in Loop: Header=BB2_118 Depth=3
	v_cmp_lt_i32_e32 vcc, -1, v6
	v_cndmask_b32_e32 v18, v12, v50, vcc
; %bb.169:                              ;   in Loop: Header=BB2_118 Depth=3
	s_or_b64 exec, exec, s[74:75]
.LBB2_170:                              ;   in Loop: Header=BB2_118 Depth=3
	s_or_b64 exec, exec, s[18:19]
	v_lshrrev_b16_e32 v30, 8, v20
	v_cmp_ne_u16_e32 vcc, 0, v30
	v_mov_b32_e32 v0, 0
	v_mov_b32_e32 v6, 0
	s_and_saveexec_b64 s[18:19], vcc
	s_cbranch_execz .LBB2_178
; %bb.171:                              ;   in Loop: Header=BB2_118 Depth=3
	v_cmp_ne_u16_e32 vcc, s48, v30
	v_bfrev_b32_e32 v6, 1
	s_and_saveexec_b64 s[74:75], vcc
	s_cbranch_execz .LBB2_177
; %bb.172:                              ;   in Loop: Header=BB2_118 Depth=3
	v_and_b32_e32 v6, 0x7c, v30
	v_and_b32_e32 v21, 3, v30
	v_cmp_ne_u32_e32 vcc, s39, v6
                                        ; implicit-def: $vgpr6
	s_and_saveexec_b64 s[76:77], vcc
	s_xor_b64 s[76:77], exec, s[76:77]
	s_cbranch_execz .LBB2_174
; %bb.173:                              ;   in Loop: Header=BB2_118 Depth=3
	v_ffbh_u32_e32 v25, v21
	v_min_u32_e32 v25, 32, v25
	v_mov_b32_e32 v31, v3
	v_bfe_u32 v6, v30, 2, 5
	v_subrev_u32_e32 v28, 29, v25
	v_lshlrev_b64 v[28:29], v28, v[30:31]
	v_sub_u32_e32 v25, 30, v25
	v_cmp_eq_u32_e32 vcc, 0, v6
	v_cndmask_b32_e32 v6, v6, v25, vcc
	v_lshlrev_b32_e32 v25, 16, v20
	v_and_b32_e32 v28, 3, v28
	v_and_b32_e32 v25, 0x80000000, v25
	v_cndmask_b32_e32 v21, v21, v28, vcc
	v_lshl_add_u32 v6, v6, 23, v25
	v_lshl_or_b32 v6, v21, 21, v6
	v_add_u32_e32 v6, 0x38000000, v6
                                        ; implicit-def: $vgpr21
.LBB2_174:                              ;   in Loop: Header=BB2_118 Depth=3
	s_andn2_saveexec_b64 s[76:77], s[76:77]
; %bb.175:                              ;   in Loop: Header=BB2_118 Depth=3
	v_cmp_lt_i16_e32 vcc, -1, v20
	v_cndmask_b32_e32 v6, v5, v8, vcc
	v_cmp_eq_u32_e32 vcc, 0, v21
	v_cndmask_b32_e32 v6, v9, v6, vcc
; %bb.176:                              ;   in Loop: Header=BB2_118 Depth=3
	s_or_b64 exec, exec, s[76:77]
.LBB2_177:                              ;   in Loop: Header=BB2_118 Depth=3
	s_or_b64 exec, exec, s[74:75]
.LBB2_178:                              ;   in Loop: Header=BB2_118 Depth=3
	s_or_b64 exec, exec, s[18:19]
	v_lshrrev_b16_e32 v30, 8, v2
	v_cmp_ne_u16_e32 vcc, 0, v30
	s_and_saveexec_b64 s[18:19], vcc
	s_cbranch_execz .LBB2_186
; %bb.179:                              ;   in Loop: Header=BB2_118 Depth=3
	v_cmp_ne_u16_e32 vcc, s48, v30
	v_bfrev_b32_e32 v0, 1
	s_and_saveexec_b64 s[74:75], vcc
	s_cbranch_execz .LBB2_185
; %bb.180:                              ;   in Loop: Header=BB2_118 Depth=3
	v_and_b32_e32 v0, 0x7c, v30
	v_and_b32_e32 v21, 3, v30
	v_cmp_ne_u32_e32 vcc, s39, v0
                                        ; implicit-def: $vgpr0
	s_and_saveexec_b64 s[76:77], vcc
	s_xor_b64 s[76:77], exec, s[76:77]
	s_cbranch_execz .LBB2_182
; %bb.181:                              ;   in Loop: Header=BB2_118 Depth=3
	v_ffbh_u32_e32 v25, v21
	v_min_u32_e32 v25, 32, v25
	v_mov_b32_e32 v31, v3
	v_bfe_u32 v0, v30, 2, 5
	v_subrev_u32_e32 v28, 29, v25
	v_lshlrev_b64 v[28:29], v28, v[30:31]
	v_sub_u32_e32 v25, 30, v25
	v_cmp_eq_u32_e32 vcc, 0, v0
	v_cndmask_b32_e32 v0, v0, v25, vcc
	v_lshlrev_b32_e32 v25, 16, v2
	v_and_b32_e32 v28, 3, v28
	v_and_b32_e32 v25, 0x80000000, v25
	v_cndmask_b32_e32 v21, v21, v28, vcc
	v_lshl_add_u32 v0, v0, 23, v25
	v_lshl_or_b32 v0, v21, 21, v0
	v_add_u32_e32 v0, 0x38000000, v0
                                        ; implicit-def: $vgpr21
.LBB2_182:                              ;   in Loop: Header=BB2_118 Depth=3
	s_andn2_saveexec_b64 s[76:77], s[76:77]
; %bb.183:                              ;   in Loop: Header=BB2_118 Depth=3
	v_cmp_lt_i16_e32 vcc, -1, v2
	v_cndmask_b32_e32 v0, v5, v8, vcc
	v_cmp_eq_u32_e32 vcc, 0, v21
	v_cndmask_b32_e32 v0, v9, v0, vcc
; %bb.184:                              ;   in Loop: Header=BB2_118 Depth=3
	s_or_b64 exec, exec, s[76:77]
.LBB2_185:                              ;   in Loop: Header=BB2_118 Depth=3
	s_or_b64 exec, exec, s[74:75]
.LBB2_186:                              ;   in Loop: Header=BB2_118 Depth=3
	s_or_b64 exec, exec, s[18:19]
	v_mul_f32_e32 v21, v6, v0
	v_and_b32_e32 v28, 0x7f800000, v21
	v_mov_b32_e32 v29, v3
	v_cmp_ne_u64_e32 vcc, s[56:57], v[28:29]
	v_and_b32_e32 v30, 0x7fffff, v21
	v_mov_b32_e32 v31, v3
                                        ; implicit-def: $vgpr6
	s_and_saveexec_b64 s[18:19], vcc
	s_xor_b64 s[74:75], exec, s[18:19]
	s_cbranch_execz .LBB2_200
; %bb.187:                              ;   in Loop: Header=BB2_118 Depth=3
	v_and_b32_e32 v28, 0x7fffffff, v21
	v_mov_b32_e32 v29, v3
	v_cmp_gt_u64_e32 vcc, s[58:59], v[28:29]
	v_and_b32_sdwa v0, v21, s48 dst_sel:DWORD dst_unused:UNUSED_PAD src0_sel:BYTE_3 src1_sel:DWORD
                                        ; implicit-def: $vgpr6
	s_and_saveexec_b64 s[18:19], vcc
	s_xor_b64 s[76:77], exec, s[18:19]
	s_cbranch_execz .LBB2_197
; %bb.188:                              ;   in Loop: Header=BB2_118 Depth=3
	v_mov_b32_e32 v6, 0
	v_cmp_ne_u32_e32 vcc, 0, v21
	s_and_saveexec_b64 s[78:79], vcc
	s_cbranch_execz .LBB2_196
; %bb.189:                              ;   in Loop: Header=BB2_118 Depth=3
	v_bfe_u32 v6, v21, 23, 8
	v_cmp_gt_u32_e64 s[18:19], s49, v6
	v_sub_u32_e32 v21, 0x71, v6
	v_cmp_eq_u32_e32 vcc, 0, v6
	v_cndmask_b32_e64 v21, 0, v21, s[18:19]
	v_or_b32_e32 v25, 0x800000, v30
	v_cndmask_b32_e32 v21, v21, v40, vcc
	v_cndmask_b32_e32 v30, v25, v30, vcc
	v_add_u32_e32 v25, 21, v21
	v_lshlrev_b64 v[28:29], v25, -1
	v_add_u32_e32 v25, 20, v21
	v_lshlrev_b64 v[38:39], v25, 1
	v_bfi_b32 v29, v29, 0, 0
	v_bfi_b32 v28, v28, 0, v30
	v_lshrrev_b64 v[30:31], v21, v[30:31]
	v_cmp_eq_u64_e64 s[18:19], v[28:29], v[38:39]
	v_mov_b32_e32 v28, v30
	v_mov_b32_e32 v29, v31
	s_and_saveexec_b64 s[88:89], s[18:19]
; %bb.190:                              ;   in Loop: Header=BB2_118 Depth=3
	v_bfe_u32 v25, v30, 21, 1
	v_add_co_u32_e64 v25, s[18:19], v30, v25
	v_add_co_u32_e64 v28, s[18:19], -1, v25
; %bb.191:                              ;   in Loop: Header=BB2_118 Depth=3
	s_or_b64 exec, exec, s[88:89]
	v_add_u32_e32 v6, 0xffffff81, v6
	v_cndmask_b32_e32 v6, v6, v41, vcc
	v_lshrrev_b32_e32 v25, 23, v30
	v_add3_u32 v25, v21, v6, v25
	v_add_u32_e32 v21, 14, v25
	v_and_b32_e32 v6, 0x1fffff, v28
	v_add_u32_e32 v30, v6, v30
	v_mov_b32_e32 v31, v3
	v_cmp_ne_u32_e32 vcc, 0, v21
                                        ; implicit-def: $vgpr6
	s_and_saveexec_b64 s[18:19], vcc
	s_xor_b64 s[18:19], exec, s[18:19]
; %bb.192:                              ;   in Loop: Header=BB2_118 Depth=3
	v_cmp_lt_u64_e32 vcc, s[60:61], v[30:31]
	v_add_u32_e32 v6, 15, v25
	v_cndmask_b32_e32 v6, v21, v6, vcc
	v_cndmask_b32_e64 v21, 0, 1, vcc
	v_lshrrev_b64 v[30:31], v21, v[30:31]
; %bb.193:                              ;   in Loop: Header=BB2_118 Depth=3
	s_andn2_saveexec_b64 s[18:19], s[18:19]
; %bb.194:                              ;   in Loop: Header=BB2_118 Depth=3
	v_bfe_u32 v6, v30, 23, 1
; %bb.195:                              ;   in Loop: Header=BB2_118 Depth=3
	s_or_b64 exec, exec, s[18:19]
	v_lshrrev_b64 v[28:29], 21, v[30:31]
	v_cmp_gt_i32_e32 vcc, 32, v6
	v_cndmask_b32_e32 v29, 0, v29, vcc
	v_cndmask_b32_e32 v28, 3, v28, vcc
	v_cmp_eq_u32_e32 vcc, 0, v6
	v_min_i32_e32 v6, 31, v6
	v_cmp_eq_u64_e64 s[18:19], 0, v[28:29]
	v_lshlrev_b32_e32 v6, 2, v6
	v_and_b32_e32 v6, 0xfc, v6
	v_and_or_b32 v6, v28, 3, v6
	s_and_b64 s[18:19], vcc, s[18:19]
	v_cndmask_b32_e64 v6, v6, 0, s[18:19]
	v_or_b32_e32 v6, v6, v0
.LBB2_196:                              ;   in Loop: Header=BB2_118 Depth=3
	s_or_b64 exec, exec, s[78:79]
                                        ; implicit-def: $vgpr0
.LBB2_197:                              ;   in Loop: Header=BB2_118 Depth=3
	s_andn2_saveexec_b64 s[18:19], s[76:77]
; %bb.198:                              ;   in Loop: Header=BB2_118 Depth=3
	v_or_b32_e32 v6, 0x7b, v0
; %bb.199:                              ;   in Loop: Header=BB2_118 Depth=3
	s_or_b64 exec, exec, s[18:19]
                                        ; implicit-def: $vgpr21
                                        ; implicit-def: $vgpr30_vgpr31
.LBB2_200:                              ;   in Loop: Header=BB2_118 Depth=3
	s_andn2_saveexec_b64 s[18:19], s[74:75]
	s_cbranch_execz .LBB2_206
; %bb.201:                              ;   in Loop: Header=BB2_118 Depth=3
	v_cmp_ne_u64_e32 vcc, 0, v[30:31]
                                        ; implicit-def: $vgpr6
	s_and_saveexec_b64 s[74:75], vcc
	s_xor_b64 s[74:75], exec, s[74:75]
; %bb.202:                              ;   in Loop: Header=BB2_118 Depth=3
	v_or_b32_sdwa v6, v21, s50 dst_sel:DWORD dst_unused:UNUSED_PAD src0_sel:BYTE_3 src1_sel:DWORD
                                        ; implicit-def: $vgpr21
; %bb.203:                              ;   in Loop: Header=BB2_118 Depth=3
	s_andn2_saveexec_b64 s[74:75], s[74:75]
; %bb.204:                              ;   in Loop: Header=BB2_118 Depth=3
	v_cmp_lt_i32_e32 vcc, -1, v21
	v_cndmask_b32_e32 v6, v12, v50, vcc
; %bb.205:                              ;   in Loop: Header=BB2_118 Depth=3
	s_or_b64 exec, exec, s[74:75]
.LBB2_206:                              ;   in Loop: Header=BB2_118 Depth=3
	s_or_b64 exec, exec, s[18:19]
	v_lshrrev_b32_e32 v0, 16, v20
	v_cmp_ne_u16_sdwa s[74:75], v0, v3 src0_sel:BYTE_0 src1_sel:DWORD
	v_mov_b32_e32 v25, 0
	v_mov_b32_e32 v21, 0
	s_and_saveexec_b64 s[18:19], s[74:75]
	s_cbranch_execz .LBB2_214
; %bb.207:                              ;   in Loop: Header=BB2_118 Depth=3
	v_cmp_ne_u16_sdwa s[76:77], v0, s48 src0_sel:BYTE_0 src1_sel:DWORD
	v_bfrev_b32_e32 v21, 1
	s_and_saveexec_b64 s[74:75], s[76:77]
	s_cbranch_execz .LBB2_213
; %bb.208:                              ;   in Loop: Header=BB2_118 Depth=3
	v_and_b32_e32 v21, 0x7c0000, v20
	v_bfe_u32 v28, v20, 16, 2
	v_cmp_ne_u32_e32 vcc, s51, v21
                                        ; implicit-def: $vgpr21
	s_and_saveexec_b64 s[76:77], vcc
	s_xor_b64 s[76:77], exec, s[76:77]
	s_cbranch_execz .LBB2_210
; %bb.209:                              ;   in Loop: Header=BB2_118 Depth=3
	v_ffbh_u32_e32 v29, v28
	v_min_u32_e32 v31, 32, v29
	v_subrev_u32_e32 v29, 29, v31
	v_lshlrev_b64 v[29:30], v29, v[0:1]
	v_bfe_u32 v21, v20, 18, 5
	v_sub_u32_e32 v0, 30, v31
	v_and_b32_e32 v29, 3, v29
	v_cmp_eq_u32_e32 vcc, 0, v21
	v_cndmask_b32_e32 v0, v21, v0, vcc
	v_cndmask_b32_e32 v21, v28, v29, vcc
	v_lshlrev_b32_e32 v28, 8, v20
	v_and_b32_e32 v28, 0x80000000, v28
	v_lshl_add_u32 v0, v0, 23, v28
	v_lshl_or_b32 v0, v21, 21, v0
	v_add_u32_e32 v21, 0x38000000, v0
                                        ; implicit-def: $vgpr28
                                        ; implicit-def: $vgpr0
.LBB2_210:                              ;   in Loop: Header=BB2_118 Depth=3
	s_andn2_saveexec_b64 s[76:77], s[76:77]
; %bb.211:                              ;   in Loop: Header=BB2_118 Depth=3
	v_cmp_gt_i16_sdwa vcc, sext(v0), v27 src0_sel:BYTE_0 src1_sel:DWORD
	v_cndmask_b32_e32 v0, v5, v8, vcc
	v_cmp_eq_u32_e32 vcc, 0, v28
	v_cndmask_b32_e32 v21, v9, v0, vcc
; %bb.212:                              ;   in Loop: Header=BB2_118 Depth=3
	s_or_b64 exec, exec, s[76:77]
.LBB2_213:                              ;   in Loop: Header=BB2_118 Depth=3
	s_or_b64 exec, exec, s[74:75]
.LBB2_214:                              ;   in Loop: Header=BB2_118 Depth=3
	s_or_b64 exec, exec, s[18:19]
	v_and_b32_sdwa v28, v2, s37 dst_sel:DWORD dst_unused:UNUSED_PAD src0_sel:WORD_1 src1_sel:DWORD
	v_lshrrev_b32_e32 v0, 16, v2
	v_cmp_ne_u16_e32 vcc, 0, v28
	s_and_saveexec_b64 s[18:19], vcc
	s_cbranch_execz .LBB2_222
; %bb.215:                              ;   in Loop: Header=BB2_118 Depth=3
	v_cmp_ne_u16_e32 vcc, s48, v28
	v_bfrev_b32_e32 v25, 1
	s_and_saveexec_b64 s[74:75], vcc
	s_cbranch_execz .LBB2_221
; %bb.216:                              ;   in Loop: Header=BB2_118 Depth=3
	v_and_b32_e32 v25, 0x7c0000, v2
	v_bfe_u32 v28, v2, 16, 2
	v_cmp_ne_u32_e32 vcc, s51, v25
                                        ; implicit-def: $vgpr25
	s_and_saveexec_b64 s[76:77], vcc
	s_xor_b64 s[76:77], exec, s[76:77]
	s_cbranch_execz .LBB2_218
; %bb.217:                              ;   in Loop: Header=BB2_118 Depth=3
	v_ffbh_u32_e32 v29, v28
	v_min_u32_e32 v31, 32, v29
	v_lshrrev_b32_e32 v0, 16, v2
	v_subrev_u32_e32 v29, 29, v31
	v_lshlrev_b64 v[29:30], v29, v[0:1]
	v_bfe_u32 v25, v2, 18, 5
	v_sub_u32_e32 v0, 30, v31
	v_and_b32_e32 v29, 3, v29
	v_cmp_eq_u32_e32 vcc, 0, v25
	v_cndmask_b32_e32 v0, v25, v0, vcc
	v_cndmask_b32_e32 v25, v28, v29, vcc
	v_lshlrev_b32_e32 v28, 8, v2
	v_and_b32_e32 v28, 0x80000000, v28
	v_lshl_add_u32 v0, v0, 23, v28
	v_lshl_or_b32 v0, v25, 21, v0
	v_add_u32_e32 v25, 0x38000000, v0
                                        ; implicit-def: $vgpr28
                                        ; implicit-def: $vgpr0
.LBB2_218:                              ;   in Loop: Header=BB2_118 Depth=3
	s_andn2_saveexec_b64 s[76:77], s[76:77]
; %bb.219:                              ;   in Loop: Header=BB2_118 Depth=3
	v_cmp_gt_i16_sdwa vcc, sext(v0), v27 src0_sel:BYTE_0 src1_sel:DWORD
	v_cndmask_b32_e32 v0, v5, v8, vcc
	v_cmp_eq_u32_e32 vcc, 0, v28
	v_cndmask_b32_e32 v25, v9, v0, vcc
; %bb.220:                              ;   in Loop: Header=BB2_118 Depth=3
	s_or_b64 exec, exec, s[76:77]
.LBB2_221:                              ;   in Loop: Header=BB2_118 Depth=3
	s_or_b64 exec, exec, s[74:75]
.LBB2_222:                              ;   in Loop: Header=BB2_118 Depth=3
	s_or_b64 exec, exec, s[18:19]
	v_mul_f32_e32 v21, v21, v25
	v_and_b32_e32 v28, 0x7f800000, v21
	v_mov_b32_e32 v29, v3
	v_cmp_ne_u64_e32 vcc, s[56:57], v[28:29]
	v_and_b32_e32 v30, 0x7fffff, v21
	v_mov_b32_e32 v31, v3
                                        ; implicit-def: $vgpr58
	s_and_saveexec_b64 s[18:19], vcc
	s_xor_b64 s[74:75], exec, s[18:19]
	s_cbranch_execz .LBB2_236
; %bb.223:                              ;   in Loop: Header=BB2_118 Depth=3
	v_and_b32_e32 v28, 0x7fffffff, v21
	v_mov_b32_e32 v29, v3
	v_cmp_gt_u64_e32 vcc, s[58:59], v[28:29]
	v_and_b32_sdwa v0, v21, s48 dst_sel:DWORD dst_unused:UNUSED_PAD src0_sel:BYTE_3 src1_sel:DWORD
                                        ; implicit-def: $vgpr58
	s_and_saveexec_b64 s[18:19], vcc
	s_xor_b64 s[76:77], exec, s[18:19]
	s_cbranch_execz .LBB2_233
; %bb.224:                              ;   in Loop: Header=BB2_118 Depth=3
	v_mov_b32_e32 v58, 0
	v_cmp_ne_u32_e32 vcc, 0, v21
	s_and_saveexec_b64 s[78:79], vcc
	s_cbranch_execz .LBB2_232
; %bb.225:                              ;   in Loop: Header=BB2_118 Depth=3
	v_bfe_u32 v21, v21, 23, 8
	v_cmp_gt_u32_e64 s[18:19], s49, v21
	v_sub_u32_e32 v25, 0x71, v21
	v_cmp_eq_u32_e32 vcc, 0, v21
	v_cndmask_b32_e64 v25, 0, v25, s[18:19]
	v_or_b32_e32 v28, 0x800000, v30
	v_cndmask_b32_e32 v25, v25, v40, vcc
	v_cndmask_b32_e32 v30, v28, v30, vcc
	v_add_u32_e32 v28, 21, v25
	v_lshlrev_b64 v[28:29], v28, -1
	v_add_u32_e32 v38, 20, v25
	v_lshlrev_b64 v[38:39], v38, 1
	v_bfi_b32 v29, v29, 0, 0
	v_bfi_b32 v28, v28, 0, v30
	v_lshrrev_b64 v[30:31], v25, v[30:31]
	v_cmp_eq_u64_e64 s[18:19], v[28:29], v[38:39]
	v_mov_b32_e32 v28, v30
	v_mov_b32_e32 v29, v31
	s_and_saveexec_b64 s[88:89], s[18:19]
; %bb.226:                              ;   in Loop: Header=BB2_118 Depth=3
	v_bfe_u32 v28, v30, 21, 1
	v_add_co_u32_e64 v28, s[18:19], v30, v28
	v_add_co_u32_e64 v28, s[18:19], -1, v28
; %bb.227:                              ;   in Loop: Header=BB2_118 Depth=3
	s_or_b64 exec, exec, s[88:89]
	v_add_u32_e32 v21, 0xffffff81, v21
	v_cndmask_b32_e32 v21, v21, v41, vcc
	v_lshrrev_b32_e32 v29, 23, v30
	v_add3_u32 v29, v25, v21, v29
	v_add_u32_e32 v25, 14, v29
	v_and_b32_e32 v21, 0x1fffff, v28
	v_add_u32_e32 v30, v21, v30
	v_mov_b32_e32 v31, v3
	v_cmp_ne_u32_e32 vcc, 0, v25
                                        ; implicit-def: $vgpr21
	s_and_saveexec_b64 s[18:19], vcc
	s_xor_b64 s[18:19], exec, s[18:19]
; %bb.228:                              ;   in Loop: Header=BB2_118 Depth=3
	v_cmp_lt_u64_e32 vcc, s[60:61], v[30:31]
	v_add_u32_e32 v21, 15, v29
	v_cndmask_b32_e32 v21, v25, v21, vcc
	v_cndmask_b32_e64 v25, 0, 1, vcc
	v_lshrrev_b64 v[30:31], v25, v[30:31]
; %bb.229:                              ;   in Loop: Header=BB2_118 Depth=3
	s_andn2_saveexec_b64 s[18:19], s[18:19]
; %bb.230:                              ;   in Loop: Header=BB2_118 Depth=3
	v_bfe_u32 v21, v30, 23, 1
; %bb.231:                              ;   in Loop: Header=BB2_118 Depth=3
	s_or_b64 exec, exec, s[18:19]
	v_lshrrev_b64 v[28:29], 21, v[30:31]
	v_cmp_gt_i32_e32 vcc, 32, v21
	v_cndmask_b32_e32 v29, 0, v29, vcc
	v_cndmask_b32_e32 v28, 3, v28, vcc
	v_cmp_eq_u32_e32 vcc, 0, v21
	v_min_i32_e32 v21, 31, v21
	v_cmp_eq_u64_e64 s[18:19], 0, v[28:29]
	v_lshlrev_b32_e32 v21, 2, v21
	v_and_b32_e32 v21, 0xfc, v21
	v_and_or_b32 v21, v28, 3, v21
	s_and_b64 s[18:19], vcc, s[18:19]
	v_cndmask_b32_e64 v21, v21, 0, s[18:19]
	v_or_b32_e32 v58, v21, v0
.LBB2_232:                              ;   in Loop: Header=BB2_118 Depth=3
	s_or_b64 exec, exec, s[78:79]
                                        ; implicit-def: $vgpr0
.LBB2_233:                              ;   in Loop: Header=BB2_118 Depth=3
	s_andn2_saveexec_b64 s[18:19], s[76:77]
; %bb.234:                              ;   in Loop: Header=BB2_118 Depth=3
	v_or_b32_e32 v58, 0x7b, v0
; %bb.235:                              ;   in Loop: Header=BB2_118 Depth=3
	s_or_b64 exec, exec, s[18:19]
                                        ; implicit-def: $vgpr21
                                        ; implicit-def: $vgpr30_vgpr31
.LBB2_236:                              ;   in Loop: Header=BB2_118 Depth=3
	s_andn2_saveexec_b64 s[18:19], s[74:75]
	s_cbranch_execz .LBB2_242
; %bb.237:                              ;   in Loop: Header=BB2_118 Depth=3
	v_cmp_ne_u64_e32 vcc, 0, v[30:31]
                                        ; implicit-def: $vgpr58
	s_and_saveexec_b64 s[74:75], vcc
	s_xor_b64 s[74:75], exec, s[74:75]
; %bb.238:                              ;   in Loop: Header=BB2_118 Depth=3
	v_or_b32_sdwa v58, v21, s50 dst_sel:DWORD dst_unused:UNUSED_PAD src0_sel:BYTE_3 src1_sel:DWORD
                                        ; implicit-def: $vgpr21
; %bb.239:                              ;   in Loop: Header=BB2_118 Depth=3
	s_andn2_saveexec_b64 s[74:75], s[74:75]
; %bb.240:                              ;   in Loop: Header=BB2_118 Depth=3
	v_cmp_lt_i32_e32 vcc, -1, v21
	v_cndmask_b32_e32 v58, v12, v50, vcc
; %bb.241:                              ;   in Loop: Header=BB2_118 Depth=3
	s_or_b64 exec, exec, s[74:75]
.LBB2_242:                              ;   in Loop: Header=BB2_118 Depth=3
	s_or_b64 exec, exec, s[18:19]
	v_cmp_lt_u32_e32 vcc, s47, v20
	v_mov_b32_e32 v21, 0
	v_mov_b32_e32 v25, 0
	s_and_saveexec_b64 s[18:19], vcc
	s_cbranch_execz .LBB2_250
; %bb.243:                              ;   in Loop: Header=BB2_118 Depth=3
	v_lshrrev_b32_e32 v0, 24, v20
	v_cmp_ne_u32_e32 vcc, s48, v0
	v_bfrev_b32_e32 v25, 1
	s_and_saveexec_b64 s[74:75], vcc
	s_cbranch_execz .LBB2_249
; %bb.244:                              ;   in Loop: Header=BB2_118 Depth=3
	v_and_b32_e32 v25, 0x7c000000, v20
	v_bfe_u32 v28, v20, 24, 2
	v_cmp_ne_u32_e32 vcc, s52, v25
                                        ; implicit-def: $vgpr25
	s_and_saveexec_b64 s[76:77], vcc
	s_xor_b64 s[76:77], exec, s[76:77]
	s_cbranch_execz .LBB2_246
; %bb.245:                              ;   in Loop: Header=BB2_118 Depth=3
	v_ffbh_u32_e32 v29, v28
	v_min_u32_e32 v31, 32, v29
	v_subrev_u32_e32 v29, 29, v31
	v_bfe_u32 v25, v20, 26, 5
	v_lshlrev_b64 v[29:30], v29, v[0:1]
	v_sub_u32_e32 v0, 30, v31
	v_cmp_eq_u32_e32 vcc, 0, v25
	v_and_b32_e32 v29, 3, v29
	v_cndmask_b32_e32 v0, v25, v0, vcc
	v_and_b32_e32 v20, 0x80000000, v20
	v_cndmask_b32_e32 v25, v28, v29, vcc
	v_lshl_add_u32 v0, v0, 23, v20
	v_lshl_or_b32 v0, v25, 21, v0
	v_add_u32_e32 v25, 0x38000000, v0
                                        ; implicit-def: $vgpr28
.LBB2_246:                              ;   in Loop: Header=BB2_118 Depth=3
	s_andn2_saveexec_b64 s[76:77], s[76:77]
; %bb.247:                              ;   in Loop: Header=BB2_118 Depth=3
	v_cmp_lt_i32_e32 vcc, -1, v20
	v_cndmask_b32_e32 v0, v5, v8, vcc
	v_cmp_eq_u32_e32 vcc, 0, v28
	v_cndmask_b32_e32 v25, v9, v0, vcc
; %bb.248:                              ;   in Loop: Header=BB2_118 Depth=3
	s_or_b64 exec, exec, s[76:77]
.LBB2_249:                              ;   in Loop: Header=BB2_118 Depth=3
	s_or_b64 exec, exec, s[74:75]
.LBB2_250:                              ;   in Loop: Header=BB2_118 Depth=3
	s_or_b64 exec, exec, s[18:19]
	v_cmp_lt_u32_e32 vcc, s47, v2
	s_and_saveexec_b64 s[18:19], vcc
	s_cbranch_execz .LBB2_258
; %bb.251:                              ;   in Loop: Header=BB2_118 Depth=3
	v_lshrrev_b32_e32 v0, 24, v2
	v_cmp_ne_u32_e32 vcc, s48, v0
	v_bfrev_b32_e32 v21, 1
	s_and_saveexec_b64 s[74:75], vcc
	s_cbranch_execz .LBB2_257
; %bb.252:                              ;   in Loop: Header=BB2_118 Depth=3
	v_and_b32_e32 v21, 0x7c000000, v2
	v_bfe_u32 v20, v2, 24, 2
	v_cmp_ne_u32_e32 vcc, s52, v21
                                        ; implicit-def: $vgpr21
	s_and_saveexec_b64 s[76:77], vcc
	s_xor_b64 s[76:77], exec, s[76:77]
	s_cbranch_execz .LBB2_254
; %bb.253:                              ;   in Loop: Header=BB2_118 Depth=3
	v_ffbh_u32_e32 v28, v20
	v_min_u32_e32 v30, 32, v28
	v_subrev_u32_e32 v28, 29, v30
	v_bfe_u32 v21, v2, 26, 5
	v_lshlrev_b64 v[28:29], v28, v[0:1]
	v_sub_u32_e32 v0, 30, v30
	v_cmp_eq_u32_e32 vcc, 0, v21
	v_and_b32_e32 v28, 3, v28
	v_cndmask_b32_e32 v0, v21, v0, vcc
	v_and_b32_e32 v2, 0x80000000, v2
	v_cndmask_b32_e32 v20, v20, v28, vcc
	v_lshl_add_u32 v0, v0, 23, v2
	v_lshl_or_b32 v0, v20, 21, v0
	v_add_u32_e32 v21, 0x38000000, v0
                                        ; implicit-def: $vgpr20
.LBB2_254:                              ;   in Loop: Header=BB2_118 Depth=3
	s_andn2_saveexec_b64 s[76:77], s[76:77]
; %bb.255:                              ;   in Loop: Header=BB2_118 Depth=3
	v_cmp_lt_i32_e32 vcc, -1, v2
	v_cndmask_b32_e32 v0, v5, v8, vcc
	v_cmp_eq_u32_e32 vcc, 0, v20
	v_cndmask_b32_e32 v21, v9, v0, vcc
; %bb.256:                              ;   in Loop: Header=BB2_118 Depth=3
	s_or_b64 exec, exec, s[76:77]
.LBB2_257:                              ;   in Loop: Header=BB2_118 Depth=3
	s_or_b64 exec, exec, s[74:75]
.LBB2_258:                              ;   in Loop: Header=BB2_118 Depth=3
	s_or_b64 exec, exec, s[18:19]
	v_mul_f32_e32 v20, v25, v21
	v_and_b32_e32 v28, 0x7f800000, v20
	v_mov_b32_e32 v29, v3
	v_cmp_ne_u64_e32 vcc, s[56:57], v[28:29]
	v_and_b32_e32 v2, 0x7fffff, v20
                                        ; implicit-def: $vgpr30
	s_and_saveexec_b64 s[18:19], vcc
	s_xor_b64 s[74:75], exec, s[18:19]
	s_cbranch_execz .LBB2_272
; %bb.259:                              ;   in Loop: Header=BB2_118 Depth=3
	v_and_b32_e32 v28, 0x7fffffff, v20
	v_mov_b32_e32 v29, v3
	v_cmp_gt_u64_e32 vcc, s[58:59], v[28:29]
	v_and_b32_sdwa v0, v20, s48 dst_sel:DWORD dst_unused:UNUSED_PAD src0_sel:BYTE_3 src1_sel:DWORD
                                        ; implicit-def: $vgpr30
	s_and_saveexec_b64 s[18:19], vcc
	s_xor_b64 s[76:77], exec, s[18:19]
	s_cbranch_execz .LBB2_269
; %bb.260:                              ;   in Loop: Header=BB2_118 Depth=3
	v_mov_b32_e32 v30, 0
	v_cmp_ne_u32_e32 vcc, 0, v20
	s_and_saveexec_b64 s[78:79], vcc
	s_cbranch_execz .LBB2_268
; %bb.261:                              ;   in Loop: Header=BB2_118 Depth=3
	v_bfe_u32 v25, v20, 23, 8
	v_cmp_gt_u32_e64 s[18:19], s49, v25
	v_sub_u32_e32 v20, 0x71, v25
	v_cmp_eq_u32_e32 vcc, 0, v25
	v_cndmask_b32_e64 v20, 0, v20, s[18:19]
	v_cndmask_b32_e32 v30, v20, v40, vcc
	v_or_b32_e32 v21, 0x800000, v2
	v_add_u32_e32 v20, 21, v30
	v_cndmask_b32_e32 v2, v21, v2, vcc
	v_lshlrev_b64 v[20:21], v20, -1
	v_add_u32_e32 v28, 20, v30
	v_lshlrev_b64 v[28:29], v28, 1
	v_bfi_b32 v21, v21, 0, 0
	v_bfi_b32 v20, v20, 0, v2
	v_cmp_eq_u64_e64 s[18:19], v[20:21], v[28:29]
	v_lshrrev_b64 v[20:21], v30, v[2:3]
	v_mov_b32_e32 v29, v21
	v_mov_b32_e32 v28, v20
	s_and_saveexec_b64 s[88:89], s[18:19]
; %bb.262:                              ;   in Loop: Header=BB2_118 Depth=3
	v_bfe_u32 v2, v20, 21, 1
	v_add_co_u32_e64 v2, s[18:19], v20, v2
	v_add_co_u32_e64 v28, s[18:19], -1, v2
; %bb.263:                              ;   in Loop: Header=BB2_118 Depth=3
	s_or_b64 exec, exec, s[88:89]
	v_add_u32_e32 v2, 0xffffff81, v25
	v_cndmask_b32_e32 v2, v2, v41, vcc
	v_lshrrev_b32_e32 v21, 23, v20
	v_add3_u32 v30, v30, v2, v21
	v_add_u32_e32 v29, 14, v30
	v_and_b32_e32 v2, 0x1fffff, v28
	v_add_u32_e32 v2, v2, v20
	v_cmp_ne_u32_e32 vcc, 0, v29
                                        ; implicit-def: $vgpr20_vgpr21
                                        ; implicit-def: $vgpr25
	s_and_saveexec_b64 s[18:19], vcc
	s_xor_b64 s[18:19], exec, s[18:19]
; %bb.264:                              ;   in Loop: Header=BB2_118 Depth=3
	v_cmp_lt_u64_e32 vcc, s[60:61], v[2:3]
	v_add_u32_e32 v20, 15, v30
	v_cndmask_b32_e32 v25, v29, v20, vcc
	v_cndmask_b32_e64 v20, 0, 1, vcc
	v_lshrrev_b64 v[20:21], v20, v[2:3]
; %bb.265:                              ;   in Loop: Header=BB2_118 Depth=3
	s_andn2_saveexec_b64 s[18:19], s[18:19]
; %bb.266:                              ;   in Loop: Header=BB2_118 Depth=3
	v_mov_b32_e32 v21, v3
	v_bfe_u32 v25, v2, 23, 1
	v_mov_b32_e32 v20, v2
; %bb.267:                              ;   in Loop: Header=BB2_118 Depth=3
	s_or_b64 exec, exec, s[18:19]
	v_lshrrev_b64 v[20:21], 21, v[20:21]
	v_cmp_gt_i32_e32 vcc, 32, v25
	v_cndmask_b32_e32 v21, 0, v21, vcc
	v_cndmask_b32_e32 v20, 3, v20, vcc
	v_min_i32_e32 v2, 31, v25
	v_cmp_eq_u64_e64 s[18:19], 0, v[20:21]
	v_lshlrev_b32_e32 v2, 2, v2
	v_cmp_eq_u32_e32 vcc, 0, v25
	v_and_b32_e32 v2, 0xfc, v2
	v_and_or_b32 v2, v20, 3, v2
	s_and_b64 s[18:19], vcc, s[18:19]
	v_cndmask_b32_e64 v2, v2, 0, s[18:19]
	v_or_b32_e32 v30, v2, v0
.LBB2_268:                              ;   in Loop: Header=BB2_118 Depth=3
	s_or_b64 exec, exec, s[78:79]
                                        ; implicit-def: $vgpr0
.LBB2_269:                              ;   in Loop: Header=BB2_118 Depth=3
	s_andn2_saveexec_b64 s[18:19], s[76:77]
; %bb.270:                              ;   in Loop: Header=BB2_118 Depth=3
	v_or_b32_e32 v30, 0x7b, v0
; %bb.271:                              ;   in Loop: Header=BB2_118 Depth=3
	s_or_b64 exec, exec, s[18:19]
                                        ; implicit-def: $vgpr20
.LBB2_272:                              ;   in Loop: Header=BB2_118 Depth=3
	s_andn2_saveexec_b64 s[18:19], s[74:75]
	s_cbranch_execz .LBB2_278
; %bb.273:                              ;   in Loop: Header=BB2_118 Depth=3
	v_cmp_ne_u64_e32 vcc, 0, v[2:3]
                                        ; implicit-def: $vgpr30
	s_and_saveexec_b64 s[74:75], vcc
	s_xor_b64 s[74:75], exec, s[74:75]
; %bb.274:                              ;   in Loop: Header=BB2_118 Depth=3
	v_or_b32_sdwa v30, v20, s50 dst_sel:DWORD dst_unused:UNUSED_PAD src0_sel:BYTE_3 src1_sel:DWORD
                                        ; implicit-def: $vgpr20
; %bb.275:                              ;   in Loop: Header=BB2_118 Depth=3
	s_andn2_saveexec_b64 s[74:75], s[74:75]
; %bb.276:                              ;   in Loop: Header=BB2_118 Depth=3
	v_cmp_lt_i32_e32 vcc, -1, v20
	v_cndmask_b32_e32 v30, v12, v50, vcc
; %bb.277:                              ;   in Loop: Header=BB2_118 Depth=3
	s_or_b64 exec, exec, s[74:75]
.LBB2_278:                              ;   in Loop: Header=BB2_118 Depth=3
	s_or_b64 exec, exec, s[18:19]
	v_cmp_ne_u16_sdwa s[74:75], v22, v3 src0_sel:BYTE_0 src1_sel:DWORD
	v_mov_b32_e32 v0, 0
	v_mov_b32_e32 v20, 0
	s_and_saveexec_b64 s[18:19], s[74:75]
	s_cbranch_execz .LBB2_286
; %bb.279:                              ;   in Loop: Header=BB2_118 Depth=3
	v_cmp_ne_u16_sdwa s[76:77], sext(v22), s38 src0_sel:BYTE_0 src1_sel:DWORD
	v_bfrev_b32_e32 v20, 1
	s_and_saveexec_b64 s[74:75], s[76:77]
	s_cbranch_execz .LBB2_285
; %bb.280:                              ;   in Loop: Header=BB2_118 Depth=3
	v_and_b32_e32 v20, 0x7c, v22
	v_and_b32_e32 v2, 3, v22
	v_cmp_ne_u32_e32 vcc, s39, v20
                                        ; implicit-def: $vgpr20
	s_and_saveexec_b64 s[76:77], vcc
	s_xor_b64 s[76:77], exec, s[76:77]
	s_cbranch_execz .LBB2_282
; %bb.281:                              ;   in Loop: Header=BB2_118 Depth=3
	v_ffbh_u32_e32 v20, v2
	v_min_u32_e32 v28, 32, v20
	v_subrev_u32_e32 v20, 29, v28
	v_lshlrev_b64 v[20:21], v20, v[22:23]
	v_bfe_u32 v25, v22, 2, 5
	v_and_b32_e32 v20, 3, v20
	v_cmp_eq_u32_e32 vcc, 0, v25
	v_sub_u32_e32 v21, 30, v28
	v_cndmask_b32_e32 v2, v2, v20, vcc
	v_lshlrev_b32_e32 v20, 24, v22
	v_cndmask_b32_e32 v21, v25, v21, vcc
	v_and_b32_e32 v20, 0x80000000, v20
	v_lshl_add_u32 v20, v21, 23, v20
	v_lshl_or_b32 v2, v2, 21, v20
	v_add_u32_e32 v20, 0x38000000, v2
                                        ; implicit-def: $vgpr2
.LBB2_282:                              ;   in Loop: Header=BB2_118 Depth=3
	s_andn2_saveexec_b64 s[76:77], s[76:77]
; %bb.283:                              ;   in Loop: Header=BB2_118 Depth=3
	v_cmp_gt_i16_sdwa vcc, sext(v22), v27 src0_sel:BYTE_0 src1_sel:DWORD
	v_cndmask_b32_e32 v20, v5, v8, vcc
	v_cmp_eq_u32_e32 vcc, 0, v2
	v_cndmask_b32_e32 v20, v9, v20, vcc
; %bb.284:                              ;   in Loop: Header=BB2_118 Depth=3
	s_or_b64 exec, exec, s[76:77]
.LBB2_285:                              ;   in Loop: Header=BB2_118 Depth=3
	s_or_b64 exec, exec, s[74:75]
.LBB2_286:                              ;   in Loop: Header=BB2_118 Depth=3
	s_or_b64 exec, exec, s[18:19]
	v_alignbit_b32 v2, v59, v4, v24
	v_cmp_ne_u16_sdwa s[74:75], v2, v3 src0_sel:BYTE_0 src1_sel:DWORD
	s_and_saveexec_b64 s[18:19], s[74:75]
	s_cbranch_execz .LBB2_294
; %bb.287:                              ;   in Loop: Header=BB2_118 Depth=3
	v_cmp_ne_u16_sdwa s[76:77], sext(v2), s38 src0_sel:BYTE_0 src1_sel:DWORD
	v_bfrev_b32_e32 v0, 1
	s_and_saveexec_b64 s[74:75], s[76:77]
	s_cbranch_execz .LBB2_293
; %bb.288:                              ;   in Loop: Header=BB2_118 Depth=3
	v_and_b32_e32 v0, 0x7c, v2
	v_and_b32_e32 v4, 3, v2
	v_cmp_ne_u32_e32 vcc, s39, v0
                                        ; implicit-def: $vgpr0
	s_and_saveexec_b64 s[76:77], vcc
	s_xor_b64 s[76:77], exec, s[76:77]
	s_cbranch_execz .LBB2_290
; %bb.289:                              ;   in Loop: Header=BB2_118 Depth=3
	v_ffbh_u32_e32 v21, v4
	v_min_u32_e32 v21, 32, v21
	v_bfe_u32 v0, v2, 2, 5
	v_subrev_u32_e32 v23, 29, v21
	v_lshlrev_b64 v[23:24], v23, v[2:3]
	v_sub_u32_e32 v21, 30, v21
	v_cmp_eq_u32_e32 vcc, 0, v0
	v_cndmask_b32_e32 v0, v0, v21, vcc
	v_lshlrev_b32_e32 v21, 24, v2
	v_and_b32_e32 v23, 3, v23
	v_and_b32_e32 v21, 0x80000000, v21
	v_cndmask_b32_e32 v4, v4, v23, vcc
	v_lshl_add_u32 v0, v0, 23, v21
	v_lshl_or_b32 v0, v4, 21, v0
	v_add_u32_e32 v0, 0x38000000, v0
                                        ; implicit-def: $vgpr4
.LBB2_290:                              ;   in Loop: Header=BB2_118 Depth=3
	s_andn2_saveexec_b64 s[76:77], s[76:77]
; %bb.291:                              ;   in Loop: Header=BB2_118 Depth=3
	v_cmp_gt_i16_sdwa vcc, sext(v2), v27 src0_sel:BYTE_0 src1_sel:DWORD
	v_cndmask_b32_e32 v0, v5, v8, vcc
	v_cmp_eq_u32_e32 vcc, 0, v4
	v_cndmask_b32_e32 v0, v9, v0, vcc
; %bb.292:                              ;   in Loop: Header=BB2_118 Depth=3
	s_or_b64 exec, exec, s[76:77]
.LBB2_293:                              ;   in Loop: Header=BB2_118 Depth=3
	s_or_b64 exec, exec, s[74:75]
.LBB2_294:                              ;   in Loop: Header=BB2_118 Depth=3
	s_or_b64 exec, exec, s[18:19]
	v_mul_f32_e32 v23, v20, v0
	v_and_b32_e32 v24, 0x7f800000, v23
	v_mov_b32_e32 v25, v3
	v_cmp_ne_u64_e32 vcc, s[56:57], v[24:25]
	v_and_b32_e32 v20, 0x7fffff, v23
	v_mov_b32_e32 v21, v3
                                        ; implicit-def: $vgpr4
	s_and_saveexec_b64 s[18:19], vcc
	s_xor_b64 s[74:75], exec, s[18:19]
	s_cbranch_execz .LBB2_308
; %bb.295:                              ;   in Loop: Header=BB2_118 Depth=3
	v_and_b32_e32 v24, 0x7fffffff, v23
	v_mov_b32_e32 v25, v3
	v_cmp_gt_u64_e32 vcc, s[58:59], v[24:25]
	v_and_b32_sdwa v0, v23, s48 dst_sel:DWORD dst_unused:UNUSED_PAD src0_sel:BYTE_3 src1_sel:DWORD
                                        ; implicit-def: $vgpr4
	s_and_saveexec_b64 s[18:19], vcc
	s_xor_b64 s[76:77], exec, s[18:19]
	s_cbranch_execz .LBB2_305
; %bb.296:                              ;   in Loop: Header=BB2_118 Depth=3
	v_mov_b32_e32 v4, 0
	v_cmp_ne_u32_e32 vcc, 0, v23
	s_and_saveexec_b64 s[78:79], vcc
	s_cbranch_execz .LBB2_304
; %bb.297:                              ;   in Loop: Header=BB2_118 Depth=3
	v_bfe_u32 v4, v23, 23, 8
	v_cmp_gt_u32_e64 s[18:19], s49, v4
	v_sub_u32_e32 v23, 0x71, v4
	v_cmp_eq_u32_e32 vcc, 0, v4
	v_cndmask_b32_e64 v23, 0, v23, s[18:19]
	v_or_b32_e32 v24, 0x800000, v20
	v_cndmask_b32_e32 v23, v23, v40, vcc
	v_cndmask_b32_e32 v20, v24, v20, vcc
	v_add_u32_e32 v24, 21, v23
	v_lshlrev_b64 v[24:25], v24, -1
	v_add_u32_e32 v28, 20, v23
	v_bfi_b32 v24, v24, 0, v20
	v_lshlrev_b64 v[28:29], v28, 1
	v_lshrrev_b64 v[20:21], v23, v[20:21]
	v_bfi_b32 v25, v25, 0, 0
	v_cmp_eq_u64_e64 s[18:19], v[24:25], v[28:29]
	v_mov_b32_e32 v29, v21
	v_mov_b32_e32 v28, v20
	s_and_saveexec_b64 s[88:89], s[18:19]
; %bb.298:                              ;   in Loop: Header=BB2_118 Depth=3
	v_bfe_u32 v21, v20, 21, 1
	v_add_co_u32_e64 v21, s[18:19], v20, v21
	v_add_co_u32_e64 v28, s[18:19], -1, v21
; %bb.299:                              ;   in Loop: Header=BB2_118 Depth=3
	s_or_b64 exec, exec, s[88:89]
	v_add_u32_e32 v4, 0xffffff81, v4
	v_cndmask_b32_e32 v4, v4, v41, vcc
	v_lshrrev_b32_e32 v21, 23, v20
	v_add3_u32 v24, v23, v4, v21
	v_add_u32_e32 v23, 14, v24
	v_and_b32_e32 v4, 0x1fffff, v28
	v_add_u32_e32 v20, v4, v20
	v_mov_b32_e32 v21, v3
	v_cmp_ne_u32_e32 vcc, 0, v23
                                        ; implicit-def: $vgpr4
	s_and_saveexec_b64 s[18:19], vcc
	s_xor_b64 s[18:19], exec, s[18:19]
; %bb.300:                              ;   in Loop: Header=BB2_118 Depth=3
	v_cmp_lt_u64_e32 vcc, s[60:61], v[20:21]
	v_add_u32_e32 v4, 15, v24
	v_cndmask_b32_e32 v4, v23, v4, vcc
	v_cndmask_b32_e64 v23, 0, 1, vcc
	v_lshrrev_b64 v[20:21], v23, v[20:21]
; %bb.301:                              ;   in Loop: Header=BB2_118 Depth=3
	s_andn2_saveexec_b64 s[18:19], s[18:19]
; %bb.302:                              ;   in Loop: Header=BB2_118 Depth=3
	v_bfe_u32 v4, v20, 23, 1
; %bb.303:                              ;   in Loop: Header=BB2_118 Depth=3
	s_or_b64 exec, exec, s[18:19]
	v_lshrrev_b64 v[20:21], 21, v[20:21]
	v_cmp_gt_i32_e32 vcc, 32, v4
	v_cndmask_b32_e32 v21, 0, v21, vcc
	v_cndmask_b32_e32 v20, 3, v20, vcc
	v_cmp_eq_u32_e32 vcc, 0, v4
	v_min_i32_e32 v4, 31, v4
	v_cmp_eq_u64_e64 s[18:19], 0, v[20:21]
	v_lshlrev_b32_e32 v4, 2, v4
	v_and_b32_e32 v4, 0xfc, v4
	v_and_or_b32 v4, v20, 3, v4
	s_and_b64 s[18:19], vcc, s[18:19]
	v_cndmask_b32_e64 v4, v4, 0, s[18:19]
	v_or_b32_e32 v4, v4, v0
.LBB2_304:                              ;   in Loop: Header=BB2_118 Depth=3
	s_or_b64 exec, exec, s[78:79]
                                        ; implicit-def: $vgpr0
.LBB2_305:                              ;   in Loop: Header=BB2_118 Depth=3
	s_andn2_saveexec_b64 s[18:19], s[76:77]
; %bb.306:                              ;   in Loop: Header=BB2_118 Depth=3
	v_or_b32_e32 v4, 0x7b, v0
; %bb.307:                              ;   in Loop: Header=BB2_118 Depth=3
	s_or_b64 exec, exec, s[18:19]
                                        ; implicit-def: $vgpr23
                                        ; implicit-def: $vgpr20_vgpr21
.LBB2_308:                              ;   in Loop: Header=BB2_118 Depth=3
	s_andn2_saveexec_b64 s[18:19], s[74:75]
	s_cbranch_execz .LBB2_314
; %bb.309:                              ;   in Loop: Header=BB2_118 Depth=3
	v_cmp_ne_u64_e32 vcc, 0, v[20:21]
                                        ; implicit-def: $vgpr4
	s_and_saveexec_b64 s[74:75], vcc
	s_xor_b64 s[74:75], exec, s[74:75]
; %bb.310:                              ;   in Loop: Header=BB2_118 Depth=3
	v_or_b32_sdwa v4, v23, s50 dst_sel:DWORD dst_unused:UNUSED_PAD src0_sel:BYTE_3 src1_sel:DWORD
                                        ; implicit-def: $vgpr23
; %bb.311:                              ;   in Loop: Header=BB2_118 Depth=3
	s_andn2_saveexec_b64 s[74:75], s[74:75]
; %bb.312:                              ;   in Loop: Header=BB2_118 Depth=3
	v_cmp_lt_i32_e32 vcc, -1, v23
	v_cndmask_b32_e32 v4, v12, v50, vcc
; %bb.313:                              ;   in Loop: Header=BB2_118 Depth=3
	s_or_b64 exec, exec, s[74:75]
.LBB2_314:                              ;   in Loop: Header=BB2_118 Depth=3
	s_or_b64 exec, exec, s[18:19]
	v_lshrrev_b16_e32 v20, 8, v22
	v_cmp_ne_u16_e32 vcc, 0, v20
	v_mov_b32_e32 v0, 0
	v_mov_b32_e32 v23, 0
	s_and_saveexec_b64 s[18:19], vcc
	s_cbranch_execz .LBB2_322
; %bb.315:                              ;   in Loop: Header=BB2_118 Depth=3
	v_cmp_ne_u16_e32 vcc, s48, v20
	v_bfrev_b32_e32 v23, 1
	s_and_saveexec_b64 s[74:75], vcc
	s_cbranch_execz .LBB2_321
; %bb.316:                              ;   in Loop: Header=BB2_118 Depth=3
	v_and_b32_e32 v21, 0x7c, v20
	v_and_b32_e32 v24, 3, v20
	v_cmp_ne_u32_e32 vcc, s39, v21
                                        ; implicit-def: $vgpr23
	s_and_saveexec_b64 s[76:77], vcc
	s_xor_b64 s[76:77], exec, s[76:77]
	s_cbranch_execz .LBB2_318
; %bb.317:                              ;   in Loop: Header=BB2_118 Depth=3
	v_ffbh_u32_e32 v25, v24
	v_min_u32_e32 v25, 32, v25
	v_mov_b32_e32 v21, v3
	v_subrev_u32_e32 v28, 29, v25
	v_bfe_u32 v23, v20, 2, 5
	v_lshlrev_b64 v[20:21], v28, v[20:21]
	v_sub_u32_e32 v21, 30, v25
	v_cmp_eq_u32_e32 vcc, 0, v23
	v_cndmask_b32_e32 v21, v23, v21, vcc
	v_lshlrev_b32_e32 v23, 16, v22
	v_and_b32_e32 v20, 3, v20
	v_and_b32_e32 v23, 0x80000000, v23
	v_cndmask_b32_e32 v20, v24, v20, vcc
	v_lshl_add_u32 v21, v21, 23, v23
	v_lshl_or_b32 v20, v20, 21, v21
	v_add_u32_e32 v23, 0x38000000, v20
                                        ; implicit-def: $vgpr24
.LBB2_318:                              ;   in Loop: Header=BB2_118 Depth=3
	s_andn2_saveexec_b64 s[76:77], s[76:77]
; %bb.319:                              ;   in Loop: Header=BB2_118 Depth=3
	v_cmp_lt_i16_e32 vcc, -1, v22
	v_cndmask_b32_e32 v20, v5, v8, vcc
	v_cmp_eq_u32_e32 vcc, 0, v24
	v_cndmask_b32_e32 v23, v9, v20, vcc
; %bb.320:                              ;   in Loop: Header=BB2_118 Depth=3
	s_or_b64 exec, exec, s[76:77]
.LBB2_321:                              ;   in Loop: Header=BB2_118 Depth=3
	s_or_b64 exec, exec, s[74:75]
.LBB2_322:                              ;   in Loop: Header=BB2_118 Depth=3
	s_or_b64 exec, exec, s[18:19]
	v_lshrrev_b16_e32 v20, 8, v2
	v_cmp_ne_u16_e32 vcc, 0, v20
	s_and_saveexec_b64 s[18:19], vcc
	s_cbranch_execz .LBB2_330
; %bb.323:                              ;   in Loop: Header=BB2_118 Depth=3
	v_cmp_ne_u16_e32 vcc, s48, v20
	v_bfrev_b32_e32 v0, 1
	s_and_saveexec_b64 s[74:75], vcc
	s_cbranch_execz .LBB2_329
; %bb.324:                              ;   in Loop: Header=BB2_118 Depth=3
	v_and_b32_e32 v0, 0x7c, v20
	v_and_b32_e32 v24, 3, v20
	v_cmp_ne_u32_e32 vcc, s39, v0
                                        ; implicit-def: $vgpr0
	s_and_saveexec_b64 s[76:77], vcc
	s_xor_b64 s[76:77], exec, s[76:77]
	s_cbranch_execz .LBB2_326
; %bb.325:                              ;   in Loop: Header=BB2_118 Depth=3
	v_ffbh_u32_e32 v25, v24
	v_min_u32_e32 v25, 32, v25
	v_mov_b32_e32 v21, v3
	v_subrev_u32_e32 v28, 29, v25
	v_bfe_u32 v0, v20, 2, 5
	v_lshlrev_b64 v[20:21], v28, v[20:21]
	v_sub_u32_e32 v21, 30, v25
	v_cmp_eq_u32_e32 vcc, 0, v0
	v_cndmask_b32_e32 v0, v0, v21, vcc
	v_lshlrev_b32_e32 v21, 16, v2
	v_and_b32_e32 v20, 3, v20
	v_and_b32_e32 v21, 0x80000000, v21
	v_cndmask_b32_e32 v20, v24, v20, vcc
	v_lshl_add_u32 v0, v0, 23, v21
	v_lshl_or_b32 v0, v20, 21, v0
	v_add_u32_e32 v0, 0x38000000, v0
                                        ; implicit-def: $vgpr24
.LBB2_326:                              ;   in Loop: Header=BB2_118 Depth=3
	s_andn2_saveexec_b64 s[76:77], s[76:77]
; %bb.327:                              ;   in Loop: Header=BB2_118 Depth=3
	v_cmp_lt_i16_e32 vcc, -1, v2
	v_cndmask_b32_e32 v0, v5, v8, vcc
	v_cmp_eq_u32_e32 vcc, 0, v24
	v_cndmask_b32_e32 v0, v9, v0, vcc
; %bb.328:                              ;   in Loop: Header=BB2_118 Depth=3
	s_or_b64 exec, exec, s[76:77]
.LBB2_329:                              ;   in Loop: Header=BB2_118 Depth=3
	s_or_b64 exec, exec, s[74:75]
.LBB2_330:                              ;   in Loop: Header=BB2_118 Depth=3
	s_or_b64 exec, exec, s[18:19]
	v_mul_f32_e32 v24, v23, v0
	v_and_b32_e32 v28, 0x7f800000, v24
	v_mov_b32_e32 v29, v3
	v_cmp_ne_u64_e32 vcc, s[56:57], v[28:29]
	v_and_b32_e32 v20, 0x7fffff, v24
	v_mov_b32_e32 v21, v3
                                        ; implicit-def: $vgpr23
	s_and_saveexec_b64 s[18:19], vcc
	s_xor_b64 s[74:75], exec, s[18:19]
	s_cbranch_execz .LBB2_344
; %bb.331:                              ;   in Loop: Header=BB2_118 Depth=3
	v_and_b32_e32 v28, 0x7fffffff, v24
	v_mov_b32_e32 v29, v3
	v_cmp_gt_u64_e32 vcc, s[58:59], v[28:29]
	v_and_b32_sdwa v0, v24, s48 dst_sel:DWORD dst_unused:UNUSED_PAD src0_sel:BYTE_3 src1_sel:DWORD
                                        ; implicit-def: $vgpr23
	s_and_saveexec_b64 s[18:19], vcc
	s_xor_b64 s[76:77], exec, s[18:19]
	s_cbranch_execz .LBB2_341
; %bb.332:                              ;   in Loop: Header=BB2_118 Depth=3
	v_mov_b32_e32 v23, 0
	v_cmp_ne_u32_e32 vcc, 0, v24
	s_and_saveexec_b64 s[78:79], vcc
	s_cbranch_execz .LBB2_340
; %bb.333:                              ;   in Loop: Header=BB2_118 Depth=3
	v_bfe_u32 v23, v24, 23, 8
	v_cmp_gt_u32_e64 s[18:19], s49, v23
	v_sub_u32_e32 v24, 0x71, v23
	v_cmp_eq_u32_e32 vcc, 0, v23
	v_cndmask_b32_e64 v24, 0, v24, s[18:19]
	v_or_b32_e32 v25, 0x800000, v20
	v_cndmask_b32_e32 v24, v24, v40, vcc
	v_cndmask_b32_e32 v20, v25, v20, vcc
	v_add_u32_e32 v25, 21, v24
	v_lshlrev_b64 v[28:29], v25, -1
	v_add_u32_e32 v25, 20, v24
	v_bfi_b32 v28, v28, 0, v20
	v_lshlrev_b64 v[38:39], v25, 1
	v_lshrrev_b64 v[20:21], v24, v[20:21]
	v_bfi_b32 v29, v29, 0, 0
	v_cmp_eq_u64_e64 s[18:19], v[28:29], v[38:39]
	v_mov_b32_e32 v29, v21
	v_mov_b32_e32 v28, v20
	s_and_saveexec_b64 s[88:89], s[18:19]
; %bb.334:                              ;   in Loop: Header=BB2_118 Depth=3
	v_bfe_u32 v21, v20, 21, 1
	v_add_co_u32_e64 v21, s[18:19], v20, v21
	v_add_co_u32_e64 v28, s[18:19], -1, v21
; %bb.335:                              ;   in Loop: Header=BB2_118 Depth=3
	s_or_b64 exec, exec, s[88:89]
	v_add_u32_e32 v21, 0xffffff81, v23
	v_cndmask_b32_e32 v21, v21, v41, vcc
	v_lshrrev_b32_e32 v23, 23, v20
	v_add3_u32 v25, v24, v21, v23
	v_add_u32_e32 v24, 14, v25
	v_and_b32_e32 v21, 0x1fffff, v28
	v_add_u32_e32 v20, v21, v20
	v_mov_b32_e32 v21, v3
	v_cmp_ne_u32_e32 vcc, 0, v24
                                        ; implicit-def: $vgpr23
	s_and_saveexec_b64 s[18:19], vcc
	s_xor_b64 s[18:19], exec, s[18:19]
; %bb.336:                              ;   in Loop: Header=BB2_118 Depth=3
	v_cmp_lt_u64_e32 vcc, s[60:61], v[20:21]
	v_add_u32_e32 v23, 15, v25
	v_cndmask_b32_e32 v23, v24, v23, vcc
	v_cndmask_b32_e64 v24, 0, 1, vcc
	v_lshrrev_b64 v[20:21], v24, v[20:21]
; %bb.337:                              ;   in Loop: Header=BB2_118 Depth=3
	s_andn2_saveexec_b64 s[18:19], s[18:19]
; %bb.338:                              ;   in Loop: Header=BB2_118 Depth=3
	v_bfe_u32 v23, v20, 23, 1
; %bb.339:                              ;   in Loop: Header=BB2_118 Depth=3
	s_or_b64 exec, exec, s[18:19]
	v_lshrrev_b64 v[20:21], 21, v[20:21]
	v_cmp_gt_i32_e32 vcc, 32, v23
	v_cndmask_b32_e32 v21, 0, v21, vcc
	v_cndmask_b32_e32 v20, 3, v20, vcc
	v_cmp_eq_u64_e64 s[18:19], 0, v[20:21]
	v_min_i32_e32 v21, 31, v23
	v_lshlrev_b32_e32 v21, 2, v21
	v_cmp_eq_u32_e32 vcc, 0, v23
	v_and_b32_e32 v21, 0xfc, v21
	v_and_or_b32 v20, v20, 3, v21
	s_and_b64 s[18:19], vcc, s[18:19]
	v_cndmask_b32_e64 v20, v20, 0, s[18:19]
	v_or_b32_e32 v23, v20, v0
.LBB2_340:                              ;   in Loop: Header=BB2_118 Depth=3
	s_or_b64 exec, exec, s[78:79]
                                        ; implicit-def: $vgpr0
.LBB2_341:                              ;   in Loop: Header=BB2_118 Depth=3
	s_andn2_saveexec_b64 s[18:19], s[76:77]
; %bb.342:                              ;   in Loop: Header=BB2_118 Depth=3
	v_or_b32_e32 v23, 0x7b, v0
; %bb.343:                              ;   in Loop: Header=BB2_118 Depth=3
	s_or_b64 exec, exec, s[18:19]
                                        ; implicit-def: $vgpr24
                                        ; implicit-def: $vgpr20_vgpr21
.LBB2_344:                              ;   in Loop: Header=BB2_118 Depth=3
	s_andn2_saveexec_b64 s[18:19], s[74:75]
	s_cbranch_execz .LBB2_350
; %bb.345:                              ;   in Loop: Header=BB2_118 Depth=3
	v_cmp_ne_u64_e32 vcc, 0, v[20:21]
                                        ; implicit-def: $vgpr23
	s_and_saveexec_b64 s[74:75], vcc
	s_xor_b64 s[74:75], exec, s[74:75]
; %bb.346:                              ;   in Loop: Header=BB2_118 Depth=3
	v_or_b32_sdwa v23, v24, s50 dst_sel:DWORD dst_unused:UNUSED_PAD src0_sel:BYTE_3 src1_sel:DWORD
                                        ; implicit-def: $vgpr24
; %bb.347:                              ;   in Loop: Header=BB2_118 Depth=3
	s_andn2_saveexec_b64 s[74:75], s[74:75]
; %bb.348:                              ;   in Loop: Header=BB2_118 Depth=3
	v_cmp_lt_i32_e32 vcc, -1, v24
	v_cndmask_b32_e32 v23, v12, v50, vcc
; %bb.349:                              ;   in Loop: Header=BB2_118 Depth=3
	s_or_b64 exec, exec, s[74:75]
.LBB2_350:                              ;   in Loop: Header=BB2_118 Depth=3
	s_or_b64 exec, exec, s[18:19]
	v_lshrrev_b32_e32 v0, 16, v22
	v_cmp_ne_u16_sdwa s[74:75], v0, v3 src0_sel:BYTE_0 src1_sel:DWORD
	v_mov_b32_e32 v20, 0
	v_mov_b32_e32 v21, 0
	s_and_saveexec_b64 s[18:19], s[74:75]
	s_cbranch_execz .LBB2_358
; %bb.351:                              ;   in Loop: Header=BB2_118 Depth=3
	v_cmp_ne_u16_sdwa s[76:77], v0, s48 src0_sel:BYTE_0 src1_sel:DWORD
	v_bfrev_b32_e32 v21, 1
	s_and_saveexec_b64 s[74:75], s[76:77]
	s_cbranch_execz .LBB2_357
; %bb.352:                              ;   in Loop: Header=BB2_118 Depth=3
	v_and_b32_e32 v21, 0x7c0000, v22
	v_bfe_u32 v24, v22, 16, 2
	v_cmp_ne_u32_e32 vcc, s51, v21
                                        ; implicit-def: $vgpr21
	s_and_saveexec_b64 s[76:77], vcc
	s_xor_b64 s[76:77], exec, s[76:77]
	s_cbranch_execz .LBB2_354
; %bb.353:                              ;   in Loop: Header=BB2_118 Depth=3
	v_ffbh_u32_e32 v25, v24
	v_min_u32_e32 v25, 32, v25
	v_subrev_u32_e32 v28, 29, v25
	v_lshlrev_b64 v[28:29], v28, v[0:1]
	v_bfe_u32 v21, v22, 18, 5
	v_sub_u32_e32 v0, 30, v25
	v_and_b32_e32 v25, 3, v28
	v_cmp_eq_u32_e32 vcc, 0, v21
	v_cndmask_b32_e32 v0, v21, v0, vcc
	v_cndmask_b32_e32 v21, v24, v25, vcc
	v_lshlrev_b32_e32 v24, 8, v22
	v_and_b32_e32 v24, 0x80000000, v24
	v_lshl_add_u32 v0, v0, 23, v24
	v_lshl_or_b32 v0, v21, 21, v0
	v_add_u32_e32 v21, 0x38000000, v0
                                        ; implicit-def: $vgpr24
                                        ; implicit-def: $vgpr0
.LBB2_354:                              ;   in Loop: Header=BB2_118 Depth=3
	s_andn2_saveexec_b64 s[76:77], s[76:77]
; %bb.355:                              ;   in Loop: Header=BB2_118 Depth=3
	v_cmp_gt_i16_sdwa vcc, sext(v0), v27 src0_sel:BYTE_0 src1_sel:DWORD
	v_cndmask_b32_e32 v0, v5, v8, vcc
	v_cmp_eq_u32_e32 vcc, 0, v24
	v_cndmask_b32_e32 v21, v9, v0, vcc
; %bb.356:                              ;   in Loop: Header=BB2_118 Depth=3
	s_or_b64 exec, exec, s[76:77]
.LBB2_357:                              ;   in Loop: Header=BB2_118 Depth=3
	s_or_b64 exec, exec, s[74:75]
.LBB2_358:                              ;   in Loop: Header=BB2_118 Depth=3
	s_or_b64 exec, exec, s[18:19]
	v_and_b32_sdwa v24, v2, s37 dst_sel:DWORD dst_unused:UNUSED_PAD src0_sel:WORD_1 src1_sel:DWORD
	v_lshrrev_b32_e32 v0, 16, v2
	v_cmp_ne_u16_e32 vcc, 0, v24
	s_and_saveexec_b64 s[18:19], vcc
	s_cbranch_execz .LBB2_366
; %bb.359:                              ;   in Loop: Header=BB2_118 Depth=3
	v_cmp_ne_u16_e32 vcc, s48, v24
	v_bfrev_b32_e32 v20, 1
	s_and_saveexec_b64 s[74:75], vcc
	s_cbranch_execz .LBB2_365
; %bb.360:                              ;   in Loop: Header=BB2_118 Depth=3
	v_and_b32_e32 v20, 0x7c0000, v2
	v_bfe_u32 v24, v2, 16, 2
	v_cmp_ne_u32_e32 vcc, s51, v20
                                        ; implicit-def: $vgpr20
	s_and_saveexec_b64 s[76:77], vcc
	s_xor_b64 s[76:77], exec, s[76:77]
	s_cbranch_execz .LBB2_362
; %bb.361:                              ;   in Loop: Header=BB2_118 Depth=3
	v_ffbh_u32_e32 v25, v24
	v_min_u32_e32 v25, 32, v25
	v_subrev_u32_e32 v28, 29, v25
	v_lshlrev_b64 v[28:29], v28, v[0:1]
	v_bfe_u32 v20, v2, 18, 5
	v_sub_u32_e32 v0, 30, v25
	v_and_b32_e32 v25, 3, v28
	v_cmp_eq_u32_e32 vcc, 0, v20
	v_cndmask_b32_e32 v0, v20, v0, vcc
	v_cndmask_b32_e32 v20, v24, v25, vcc
	v_lshlrev_b32_e32 v24, 8, v2
	v_and_b32_e32 v24, 0x80000000, v24
	v_lshl_add_u32 v0, v0, 23, v24
	v_lshl_or_b32 v0, v20, 21, v0
	v_add_u32_e32 v20, 0x38000000, v0
                                        ; implicit-def: $vgpr24
                                        ; implicit-def: $vgpr0
.LBB2_362:                              ;   in Loop: Header=BB2_118 Depth=3
	s_andn2_saveexec_b64 s[76:77], s[76:77]
; %bb.363:                              ;   in Loop: Header=BB2_118 Depth=3
	v_cmp_gt_i16_sdwa vcc, sext(v0), v27 src0_sel:BYTE_0 src1_sel:DWORD
	v_cndmask_b32_e32 v0, v5, v8, vcc
	v_cmp_eq_u32_e32 vcc, 0, v24
	v_cndmask_b32_e32 v20, v9, v0, vcc
; %bb.364:                              ;   in Loop: Header=BB2_118 Depth=3
	s_or_b64 exec, exec, s[76:77]
.LBB2_365:                              ;   in Loop: Header=BB2_118 Depth=3
	s_or_b64 exec, exec, s[74:75]
.LBB2_366:                              ;   in Loop: Header=BB2_118 Depth=3
	s_or_b64 exec, exec, s[18:19]
	v_mul_f32_e32 v25, v21, v20
	v_and_b32_e32 v28, 0x7f800000, v25
	v_mov_b32_e32 v29, v3
	v_cmp_ne_u64_e32 vcc, s[56:57], v[28:29]
	v_and_b32_e32 v20, 0x7fffff, v25
	v_mov_b32_e32 v21, v3
                                        ; implicit-def: $vgpr24
	s_and_saveexec_b64 s[18:19], vcc
	s_xor_b64 s[74:75], exec, s[18:19]
	s_cbranch_execz .LBB2_380
; %bb.367:                              ;   in Loop: Header=BB2_118 Depth=3
	v_and_b32_e32 v28, 0x7fffffff, v25
	v_mov_b32_e32 v29, v3
	v_cmp_gt_u64_e32 vcc, s[58:59], v[28:29]
	v_and_b32_sdwa v0, v25, s48 dst_sel:DWORD dst_unused:UNUSED_PAD src0_sel:BYTE_3 src1_sel:DWORD
                                        ; implicit-def: $vgpr24
	s_and_saveexec_b64 s[18:19], vcc
	s_xor_b64 s[76:77], exec, s[18:19]
	s_cbranch_execz .LBB2_377
; %bb.368:                              ;   in Loop: Header=BB2_118 Depth=3
	v_mov_b32_e32 v24, 0
	v_cmp_ne_u32_e32 vcc, 0, v25
	s_and_saveexec_b64 s[78:79], vcc
	s_cbranch_execz .LBB2_376
; %bb.369:                              ;   in Loop: Header=BB2_118 Depth=3
	v_bfe_u32 v24, v25, 23, 8
	v_cmp_gt_u32_e64 s[18:19], s49, v24
	v_sub_u32_e32 v25, 0x71, v24
	v_cmp_eq_u32_e32 vcc, 0, v24
	v_cndmask_b32_e64 v25, 0, v25, s[18:19]
	v_or_b32_e32 v28, 0x800000, v20
	v_cndmask_b32_e32 v25, v25, v40, vcc
	v_cndmask_b32_e32 v20, v28, v20, vcc
	v_add_u32_e32 v28, 21, v25
	v_lshlrev_b64 v[28:29], v28, -1
	v_add_u32_e32 v31, 20, v25
	v_bfi_b32 v28, v28, 0, v20
	v_lshlrev_b64 v[38:39], v31, 1
	v_lshrrev_b64 v[20:21], v25, v[20:21]
	v_bfi_b32 v29, v29, 0, 0
	v_cmp_eq_u64_e64 s[18:19], v[28:29], v[38:39]
	v_mov_b32_e32 v29, v21
	v_mov_b32_e32 v28, v20
	s_and_saveexec_b64 s[88:89], s[18:19]
; %bb.370:                              ;   in Loop: Header=BB2_118 Depth=3
	v_bfe_u32 v21, v20, 21, 1
	v_add_co_u32_e64 v21, s[18:19], v20, v21
	v_add_co_u32_e64 v28, s[18:19], -1, v21
; %bb.371:                              ;   in Loop: Header=BB2_118 Depth=3
	s_or_b64 exec, exec, s[88:89]
	v_add_u32_e32 v21, 0xffffff81, v24
	v_cndmask_b32_e32 v21, v21, v41, vcc
	v_lshrrev_b32_e32 v24, 23, v20
	v_add3_u32 v29, v25, v21, v24
	v_add_u32_e32 v25, 14, v29
	v_and_b32_e32 v21, 0x1fffff, v28
	v_add_u32_e32 v20, v21, v20
	v_mov_b32_e32 v21, v3
	v_cmp_ne_u32_e32 vcc, 0, v25
                                        ; implicit-def: $vgpr24
	s_and_saveexec_b64 s[18:19], vcc
	s_xor_b64 s[18:19], exec, s[18:19]
; %bb.372:                              ;   in Loop: Header=BB2_118 Depth=3
	v_cmp_lt_u64_e32 vcc, s[60:61], v[20:21]
	v_add_u32_e32 v24, 15, v29
	v_cndmask_b32_e32 v24, v25, v24, vcc
	v_cndmask_b32_e64 v25, 0, 1, vcc
	v_lshrrev_b64 v[20:21], v25, v[20:21]
; %bb.373:                              ;   in Loop: Header=BB2_118 Depth=3
	s_andn2_saveexec_b64 s[18:19], s[18:19]
; %bb.374:                              ;   in Loop: Header=BB2_118 Depth=3
	v_bfe_u32 v24, v20, 23, 1
; %bb.375:                              ;   in Loop: Header=BB2_118 Depth=3
	s_or_b64 exec, exec, s[18:19]
	v_lshrrev_b64 v[20:21], 21, v[20:21]
	v_cmp_gt_i32_e32 vcc, 32, v24
	v_cndmask_b32_e32 v21, 0, v21, vcc
	v_cndmask_b32_e32 v20, 3, v20, vcc
	v_cmp_eq_u64_e64 s[18:19], 0, v[20:21]
	v_min_i32_e32 v21, 31, v24
	v_lshlrev_b32_e32 v21, 2, v21
	v_cmp_eq_u32_e32 vcc, 0, v24
	v_and_b32_e32 v21, 0xfc, v21
	v_and_or_b32 v20, v20, 3, v21
	s_and_b64 s[18:19], vcc, s[18:19]
	v_cndmask_b32_e64 v20, v20, 0, s[18:19]
	v_or_b32_e32 v24, v20, v0
.LBB2_376:                              ;   in Loop: Header=BB2_118 Depth=3
	s_or_b64 exec, exec, s[78:79]
                                        ; implicit-def: $vgpr0
.LBB2_377:                              ;   in Loop: Header=BB2_118 Depth=3
	s_andn2_saveexec_b64 s[18:19], s[76:77]
; %bb.378:                              ;   in Loop: Header=BB2_118 Depth=3
	v_or_b32_e32 v24, 0x7b, v0
; %bb.379:                              ;   in Loop: Header=BB2_118 Depth=3
	s_or_b64 exec, exec, s[18:19]
                                        ; implicit-def: $vgpr25
                                        ; implicit-def: $vgpr20_vgpr21
.LBB2_380:                              ;   in Loop: Header=BB2_118 Depth=3
	s_andn2_saveexec_b64 s[18:19], s[74:75]
	s_cbranch_execz .LBB2_386
; %bb.381:                              ;   in Loop: Header=BB2_118 Depth=3
	v_cmp_ne_u64_e32 vcc, 0, v[20:21]
                                        ; implicit-def: $vgpr24
	s_and_saveexec_b64 s[74:75], vcc
	s_xor_b64 s[74:75], exec, s[74:75]
; %bb.382:                              ;   in Loop: Header=BB2_118 Depth=3
	v_or_b32_sdwa v24, v25, s50 dst_sel:DWORD dst_unused:UNUSED_PAD src0_sel:BYTE_3 src1_sel:DWORD
                                        ; implicit-def: $vgpr25
; %bb.383:                              ;   in Loop: Header=BB2_118 Depth=3
	s_andn2_saveexec_b64 s[74:75], s[74:75]
; %bb.384:                              ;   in Loop: Header=BB2_118 Depth=3
	v_cmp_lt_i32_e32 vcc, -1, v25
	v_cndmask_b32_e32 v24, v12, v50, vcc
; %bb.385:                              ;   in Loop: Header=BB2_118 Depth=3
	s_or_b64 exec, exec, s[74:75]
.LBB2_386:                              ;   in Loop: Header=BB2_118 Depth=3
	s_or_b64 exec, exec, s[18:19]
	v_mov_b32_e32 v21, v3
	v_cmp_lt_u64_e32 vcc, s[46:47], v[21:22]
	v_mov_b32_e32 v20, 0
	v_mov_b32_e32 v25, 0
	s_and_saveexec_b64 s[18:19], vcc
	s_cbranch_execz .LBB2_394
; %bb.387:                              ;   in Loop: Header=BB2_118 Depth=3
	v_lshrrev_b32_e32 v0, 24, v22
	v_cmp_ne_u32_e32 vcc, s48, v0
	v_bfrev_b32_e32 v25, 1
	s_and_saveexec_b64 s[74:75], vcc
	s_cbranch_execz .LBB2_393
; %bb.388:                              ;   in Loop: Header=BB2_118 Depth=3
	v_and_b32_e32 v25, 0x7c000000, v22
	v_bfe_u32 v28, v22, 24, 2
	v_cmp_ne_u32_e32 vcc, s52, v25
                                        ; implicit-def: $vgpr25
	s_and_saveexec_b64 s[76:77], vcc
	s_xor_b64 s[76:77], exec, s[76:77]
	s_cbranch_execz .LBB2_390
; %bb.389:                              ;   in Loop: Header=BB2_118 Depth=3
	v_ffbh_u32_e32 v25, v28
	v_min_u32_e32 v25, 32, v25
	v_subrev_u32_e32 v29, 29, v25
	v_bfe_u32 v21, v22, 26, 5
	v_lshlrev_b64 v[38:39], v29, v[0:1]
	v_sub_u32_e32 v0, 30, v25
	v_cmp_eq_u32_e32 vcc, 0, v21
	v_and_b32_e32 v25, 3, v38
	v_cndmask_b32_e32 v0, v21, v0, vcc
	v_and_b32_e32 v22, 0x80000000, v22
	v_cndmask_b32_e32 v21, v28, v25, vcc
	v_lshl_add_u32 v0, v0, 23, v22
	v_lshl_or_b32 v0, v21, 21, v0
	v_add_u32_e32 v25, 0x38000000, v0
                                        ; implicit-def: $vgpr28
                                        ; implicit-def: $vgpr21_vgpr22
.LBB2_390:                              ;   in Loop: Header=BB2_118 Depth=3
	s_andn2_saveexec_b64 s[76:77], s[76:77]
; %bb.391:                              ;   in Loop: Header=BB2_118 Depth=3
	v_cmp_lt_i64_e32 vcc, -1, v[21:22]
	v_cndmask_b32_e32 v0, v5, v8, vcc
	v_cmp_eq_u32_e32 vcc, 0, v28
	v_cndmask_b32_e32 v25, v9, v0, vcc
; %bb.392:                              ;   in Loop: Header=BB2_118 Depth=3
	s_or_b64 exec, exec, s[76:77]
.LBB2_393:                              ;   in Loop: Header=BB2_118 Depth=3
	s_or_b64 exec, exec, s[74:75]
.LBB2_394:                              ;   in Loop: Header=BB2_118 Depth=3
	s_or_b64 exec, exec, s[18:19]
	v_cmp_lt_u32_e32 vcc, s47, v2
	s_and_saveexec_b64 s[18:19], vcc
	s_cbranch_execz .LBB2_402
; %bb.395:                              ;   in Loop: Header=BB2_118 Depth=3
	v_lshrrev_b32_e32 v0, 24, v2
	v_cmp_ne_u32_e32 vcc, s48, v0
	v_bfrev_b32_e32 v20, 1
	s_and_saveexec_b64 s[74:75], vcc
	s_cbranch_execz .LBB2_401
; %bb.396:                              ;   in Loop: Header=BB2_118 Depth=3
	v_and_b32_e32 v20, 0x7c000000, v2
	v_bfe_u32 v21, v2, 24, 2
	v_cmp_ne_u32_e32 vcc, s52, v20
                                        ; implicit-def: $vgpr20
	s_and_saveexec_b64 s[76:77], vcc
	s_xor_b64 s[76:77], exec, s[76:77]
	s_cbranch_execz .LBB2_398
; %bb.397:                              ;   in Loop: Header=BB2_118 Depth=3
	v_ffbh_u32_e32 v22, v21
	v_min_u32_e32 v22, 32, v22
	v_subrev_u32_e32 v28, 29, v22
	v_bfe_u32 v20, v2, 26, 5
	v_lshlrev_b64 v[28:29], v28, v[0:1]
	v_sub_u32_e32 v0, 30, v22
	v_cmp_eq_u32_e32 vcc, 0, v20
	v_and_b32_e32 v22, 3, v28
	v_cndmask_b32_e32 v0, v20, v0, vcc
	v_and_b32_e32 v2, 0x80000000, v2
	v_cndmask_b32_e32 v20, v21, v22, vcc
	v_lshl_add_u32 v0, v0, 23, v2
	v_lshl_or_b32 v0, v20, 21, v0
	v_add_u32_e32 v20, 0x38000000, v0
                                        ; implicit-def: $vgpr21
.LBB2_398:                              ;   in Loop: Header=BB2_118 Depth=3
	s_andn2_saveexec_b64 s[76:77], s[76:77]
; %bb.399:                              ;   in Loop: Header=BB2_118 Depth=3
	v_cmp_lt_i32_e32 vcc, -1, v2
	v_cndmask_b32_e32 v0, v5, v8, vcc
	v_cmp_eq_u32_e32 vcc, 0, v21
	v_cndmask_b32_e32 v20, v9, v0, vcc
; %bb.400:                              ;   in Loop: Header=BB2_118 Depth=3
	s_or_b64 exec, exec, s[76:77]
.LBB2_401:                              ;   in Loop: Header=BB2_118 Depth=3
	s_or_b64 exec, exec, s[74:75]
.LBB2_402:                              ;   in Loop: Header=BB2_118 Depth=3
	s_or_b64 exec, exec, s[18:19]
	v_mul_f32_e32 v21, v25, v20
	v_and_b32_e32 v28, 0x7f800000, v21
	v_mov_b32_e32 v29, v3
	v_cmp_ne_u64_e32 vcc, s[56:57], v[28:29]
	v_and_b32_e32 v2, 0x7fffff, v21
                                        ; implicit-def: $vgpr20
	s_and_saveexec_b64 s[18:19], vcc
	s_xor_b64 s[74:75], exec, s[18:19]
	s_cbranch_execz .LBB2_416
; %bb.403:                              ;   in Loop: Header=BB2_118 Depth=3
	v_and_b32_e32 v28, 0x7fffffff, v21
	v_mov_b32_e32 v29, v3
	v_cmp_gt_u64_e32 vcc, s[58:59], v[28:29]
	v_and_b32_sdwa v0, v21, s48 dst_sel:DWORD dst_unused:UNUSED_PAD src0_sel:BYTE_3 src1_sel:DWORD
                                        ; implicit-def: $vgpr20
	s_and_saveexec_b64 s[18:19], vcc
	s_xor_b64 s[76:77], exec, s[18:19]
	s_cbranch_execz .LBB2_413
; %bb.404:                              ;   in Loop: Header=BB2_118 Depth=3
	v_mov_b32_e32 v20, 0
	v_cmp_ne_u32_e32 vcc, 0, v21
	s_and_saveexec_b64 s[78:79], vcc
	s_cbranch_execz .LBB2_412
; %bb.405:                              ;   in Loop: Header=BB2_118 Depth=3
	v_bfe_u32 v25, v21, 23, 8
	v_cmp_gt_u32_e64 s[18:19], s49, v25
	v_sub_u32_e32 v20, 0x71, v25
	v_cmp_eq_u32_e32 vcc, 0, v25
	v_cndmask_b32_e64 v20, 0, v20, s[18:19]
	v_cndmask_b32_e32 v28, v20, v40, vcc
	v_or_b32_e32 v21, 0x800000, v2
	v_add_u32_e32 v20, 21, v28
	v_cndmask_b32_e32 v2, v21, v2, vcc
	v_lshlrev_b64 v[20:21], v20, -1
	v_add_u32_e32 v22, 20, v28
	v_lshlrev_b64 v[38:39], v22, 1
	v_bfi_b32 v21, v21, 0, 0
	v_bfi_b32 v20, v20, 0, v2
	v_cmp_eq_u64_e64 s[18:19], v[20:21], v[38:39]
	v_lshrrev_b64 v[20:21], v28, v[2:3]
	v_mov_b32_e32 v22, v21
	v_mov_b32_e32 v21, v20
	s_and_saveexec_b64 s[88:89], s[18:19]
; %bb.406:                              ;   in Loop: Header=BB2_118 Depth=3
	v_bfe_u32 v2, v20, 21, 1
	v_add_co_u32_e64 v2, s[18:19], v20, v2
	v_add_co_u32_e64 v21, s[18:19], -1, v2
; %bb.407:                              ;   in Loop: Header=BB2_118 Depth=3
	s_or_b64 exec, exec, s[88:89]
	v_add_u32_e32 v2, 0xffffff81, v25
	v_cndmask_b32_e32 v2, v2, v41, vcc
	v_lshrrev_b32_e32 v22, 23, v20
	v_add3_u32 v28, v28, v2, v22
	v_add_u32_e32 v25, 14, v28
	v_and_b32_e32 v2, 0x1fffff, v21
	v_add_u32_e32 v2, v2, v20
	v_cmp_ne_u32_e32 vcc, 0, v25
                                        ; implicit-def: $vgpr20_vgpr21
                                        ; implicit-def: $vgpr22
	s_and_saveexec_b64 s[18:19], vcc
	s_xor_b64 s[18:19], exec, s[18:19]
; %bb.408:                              ;   in Loop: Header=BB2_118 Depth=3
	v_cmp_lt_u64_e32 vcc, s[60:61], v[2:3]
	v_add_u32_e32 v20, 15, v28
	v_cndmask_b32_e32 v22, v25, v20, vcc
	v_cndmask_b32_e64 v20, 0, 1, vcc
	v_lshrrev_b64 v[20:21], v20, v[2:3]
; %bb.409:                              ;   in Loop: Header=BB2_118 Depth=3
	s_andn2_saveexec_b64 s[18:19], s[18:19]
; %bb.410:                              ;   in Loop: Header=BB2_118 Depth=3
	v_mov_b32_e32 v21, v3
	v_bfe_u32 v22, v2, 23, 1
	v_mov_b32_e32 v20, v2
; %bb.411:                              ;   in Loop: Header=BB2_118 Depth=3
	s_or_b64 exec, exec, s[18:19]
	v_lshrrev_b64 v[20:21], 21, v[20:21]
	v_cmp_gt_i32_e32 vcc, 32, v22
	v_cndmask_b32_e32 v21, 0, v21, vcc
	v_cndmask_b32_e32 v20, 3, v20, vcc
	v_min_i32_e32 v2, 31, v22
	v_cmp_eq_u64_e64 s[18:19], 0, v[20:21]
	v_lshlrev_b32_e32 v2, 2, v2
	v_cmp_eq_u32_e32 vcc, 0, v22
	v_and_b32_e32 v2, 0xfc, v2
	v_and_or_b32 v2, v20, 3, v2
	s_and_b64 s[18:19], vcc, s[18:19]
	v_cndmask_b32_e64 v2, v2, 0, s[18:19]
	v_or_b32_e32 v20, v2, v0
.LBB2_412:                              ;   in Loop: Header=BB2_118 Depth=3
	s_or_b64 exec, exec, s[78:79]
                                        ; implicit-def: $vgpr0
.LBB2_413:                              ;   in Loop: Header=BB2_118 Depth=3
	s_andn2_saveexec_b64 s[18:19], s[76:77]
; %bb.414:                              ;   in Loop: Header=BB2_118 Depth=3
	v_or_b32_e32 v20, 0x7b, v0
; %bb.415:                              ;   in Loop: Header=BB2_118 Depth=3
	s_or_b64 exec, exec, s[18:19]
                                        ; implicit-def: $vgpr21
.LBB2_416:                              ;   in Loop: Header=BB2_118 Depth=3
	s_andn2_saveexec_b64 s[18:19], s[74:75]
	s_cbranch_execz .LBB2_117
; %bb.417:                              ;   in Loop: Header=BB2_118 Depth=3
	v_cmp_ne_u64_e32 vcc, 0, v[2:3]
                                        ; implicit-def: $vgpr20
	s_and_saveexec_b64 s[74:75], vcc
	s_xor_b64 s[74:75], exec, s[74:75]
; %bb.418:                              ;   in Loop: Header=BB2_118 Depth=3
	v_or_b32_sdwa v20, v21, s50 dst_sel:DWORD dst_unused:UNUSED_PAD src0_sel:BYTE_3 src1_sel:DWORD
                                        ; implicit-def: $vgpr21
; %bb.419:                              ;   in Loop: Header=BB2_118 Depth=3
	s_andn2_saveexec_b64 s[74:75], s[74:75]
	s_cbranch_execz .LBB2_116
; %bb.420:                              ;   in Loop: Header=BB2_118 Depth=3
	v_cmp_lt_i32_e32 vcc, -1, v21
	v_cndmask_b32_e32 v20, v12, v50, vcc
	s_branch .LBB2_116
.LBB2_421:                              ;   in Loop: Header=BB2_73 Depth=2
	s_or_b64 exec, exec, s[72:73]
	s_or_b64 exec, exec, s[62:63]
	s_and_saveexec_b64 s[18:19], s[10:11]
	s_cbranch_execz .LBB2_110
.LBB2_422:                              ;   in Loop: Header=BB2_73 Depth=2
	s_and_saveexec_b64 s[62:63], s[40:41]
	s_xor_b64 s[62:63], exec, s[62:63]
	s_cbranch_execz .LBB2_437
; %bb.423:                              ;   in Loop: Header=BB2_73 Depth=2
	s_and_saveexec_b64 s[72:73], s[12:13]
	s_cbranch_execz .LBB2_436
; %bb.424:                              ;   in Loop: Header=BB2_73 Depth=2
	s_mov_b64 s[76:77], exec
	s_waitcnt vmcnt(0) lgkmcnt(0)
	v_mbcnt_lo_u32_b32 v0, s76, 0
	v_mbcnt_hi_u32_b32 v0, s77, v0
	v_cmp_eq_u32_e32 vcc, 0, v0
	buffer_wbinvl1_vol
	s_and_saveexec_b64 s[74:75], vcc
	s_cbranch_execz .LBB2_426
; %bb.425:                              ;   in Loop: Header=BB2_73 Depth=2
	s_bcnt1_i32_b64 s26, s[76:77]
	v_mov_b32_e32 v2, s26
	ds_add_u64 v0, v[2:3]
	s_trap 2
.LBB2_426:                              ;   in Loop: Header=BB2_73 Depth=2
	s_or_b64 exec, exec, s[74:75]
	s_trap 2
	ds_read_b64 v[20:21], v0
	s_waitcnt lgkmcnt(0)
	buffer_load_dword v0, off, s[0:3], s32 offset:124 ; 4-byte Folded Reload
	s_waitcnt vmcnt(0)
	v_add_co_u32_e32 v42, vcc, v42, v0
	v_addc_co_u32_e32 v43, vcc, 0, v43, vcc
	v_cmp_lt_u64_e32 vcc, v[20:21], v[42:43]
	s_and_saveexec_b64 s[74:75], vcc
	s_cbranch_execz .LBB2_435
; %bb.427:                              ;   in Loop: Header=BB2_73 Depth=2
	s_mov_b32 s26, 0
	s_mov_b64 s[76:77], 0
                                        ; implicit-def: $sgpr78_sgpr79
                                        ; implicit-def: $sgpr88_sgpr89
	s_branch .LBB2_429
.LBB2_428:                              ;   in Loop: Header=BB2_429 Depth=3
	s_or_b64 exec, exec, s[92:93]
	s_and_b64 s[90:91], exec, s[94:95]
	s_or_b64 s[76:77], s[90:91], s[76:77]
	s_andn2_b64 s[78:79], s[78:79], exec
	s_and_b64 s[90:91], s[88:89], exec
	s_or_b64 s[78:79], s[78:79], s[90:91]
	s_andn2_b64 exec, exec, s[76:77]
	s_cbranch_execz .LBB2_433
.LBB2_429:                              ;   Parent Loop BB2_24 Depth=1
                                        ;     Parent Loop BB2_73 Depth=2
                                        ; =>    This Inner Loop Header: Depth=3
	s_add_i32 s26, s26, 1
	s_cmpk_lg_i32 s26, 0x2710
	s_cselect_b64 s[90:91], -1, 0
	s_and_b64 vcc, exec, s[90:91]
	s_cbranch_vccz .LBB2_431
; %bb.430:                              ;   in Loop: Header=BB2_429 Depth=3
	s_mov_b64 s[94:95], -1
	s_or_b64 s[88:89], s[88:89], exec
	s_and_saveexec_b64 s[92:93], s[90:91]
	s_cbranch_execz .LBB2_428
	s_branch .LBB2_432
.LBB2_431:                              ;   in Loop: Header=BB2_429 Depth=3
	s_trap 2
	ds_read_b64 v[20:21], v0
	s_andn2_b64 s[90:91], s[90:91], exec
	s_mov_b32 s26, 0
	s_waitcnt lgkmcnt(0)
	flat_load_dword v0, v[20:21] glc
	s_waitcnt vmcnt(0) lgkmcnt(0)
	buffer_wbinvl1_vol
	v_cmp_eq_u32_e32 vcc, 0, v0
	s_and_b64 s[92:93], vcc, exec
	s_or_b64 s[90:91], s[90:91], s[92:93]
	s_mov_b64 s[94:95], -1
	s_or_b64 s[88:89], s[88:89], exec
	s_and_saveexec_b64 s[92:93], s[90:91]
	s_cbranch_execz .LBB2_428
.LBB2_432:                              ;   in Loop: Header=BB2_429 Depth=3
	s_sleep 1
	s_trap 2
	ds_read_b64 v[20:21], v0
	s_waitcnt lgkmcnt(0)
	s_andn2_b64 s[88:89], s[88:89], exec
	v_cmp_ge_u64_e32 vcc, v[20:21], v[42:43]
	s_orn2_b64 s[94:95], vcc, exec
	s_branch .LBB2_428
.LBB2_433:                              ;   in Loop: Header=BB2_73 Depth=2
	s_or_b64 exec, exec, s[76:77]
	s_and_saveexec_b64 s[76:77], s[78:79]
	s_xor_b64 s[76:77], exec, s[76:77]
	s_cbranch_execz .LBB2_435
; %bb.434:                              ;   in Loop: Header=BB2_73 Depth=2
	v_mov_b32_e32 v0, 1
	ds_write_b32 v0, v0
	s_trap 2
.LBB2_435:                              ;   in Loop: Header=BB2_73 Depth=2
	s_or_b64 exec, exec, s[74:75]
	;;#ASMSTART
	s_wakeup
	;;#ASMEND
.LBB2_436:                              ;   in Loop: Header=BB2_73 Depth=2
	s_or_b64 exec, exec, s[72:73]
.LBB2_437:                              ;   in Loop: Header=BB2_73 Depth=2
	s_andn2_saveexec_b64 s[62:63], s[62:63]
	s_cbranch_execz .LBB2_439
; %bb.438:                              ;   in Loop: Header=BB2_73 Depth=2
	s_waitcnt vmcnt(0) lgkmcnt(0)
	buffer_wbinvl1_vol
	s_barrier
.LBB2_439:                              ;   in Loop: Header=BB2_73 Depth=2
	s_or_b64 exec, exec, s[62:63]
	s_or_b64 exec, exec, s[18:19]
	s_and_saveexec_b64 s[18:19], s[14:15]
	s_cbranch_execnz .LBB2_111
	s_branch .LBB2_112
.LBB2_440:                              ;   in Loop: Header=BB2_24 Depth=1
	v_mov_b32_e32 v22, v56
	v_mov_b32_e32 v23, v57
	s_and_saveexec_b64 s[18:19], s[16:17]
	s_cbranch_execnz .LBB2_442
	s_branch .LBB2_767
.LBB2_441:                              ;   in Loop: Header=BB2_24 Depth=1
	buffer_load_dword v2, off, s[0:3], s32 offset:188 ; 4-byte Folded Reload
	buffer_load_dword v4, off, s[0:3], s32 offset:192 ; 4-byte Folded Reload
	v_mov_b32_e32 v22, v56
	v_mov_b32_e32 v23, v57
	s_and_saveexec_b64 s[18:19], s[16:17]
	s_cbranch_execz .LBB2_767
.LBB2_442:                              ;   in Loop: Header=BB2_24 Depth=1
	buffer_load_dword v10, off, s[0:3], s32 offset:68 ; 4-byte Folded Reload
	buffer_load_dword v11, off, s[0:3], s32 offset:72 ; 4-byte Folded Reload
	s_waitcnt vmcnt(0)
	v_mov_b32_e32 v25, v4
	v_mov_b32_e32 v24, v2
	v_add_u32_e32 v60, 1, v36
	s_mov_b64 s[62:63], 0
	s_waitcnt lgkmcnt(0)
	flat_load_dword v0, v[10:11]
	buffer_load_dword v18, off, s[0:3], s32 offset:196 ; 4-byte Folded Reload
	buffer_load_dword v19, off, s[0:3], s32 offset:200 ; 4-byte Folded Reload
	buffer_load_dword v20, off, s[0:3], s32 offset:204 ; 4-byte Folded Reload
	buffer_load_dword v21, off, s[0:3], s32 offset:208 ; 4-byte Folded Reload
	buffer_load_dword v4, off, s[0:3], s32 offset:92 ; 4-byte Folded Reload
	buffer_load_dword v6, off, s[0:3], s32 offset:88 ; 4-byte Folded Reload
	s_waitcnt vmcnt(0) lgkmcnt(0)
	v_ashrrev_i32_e32 v2, 31, v0
	v_mov_b32_e32 v10, v20
	v_mov_b32_e32 v11, v21
	v_add_co_u32_e32 v10, vcc, v10, v24
	v_addc_co_u32_e32 v11, vcc, v11, v25, vcc
	v_mul_lo_u32 v4, v4, v0
	v_mul_lo_u32 v2, v6, v2
	v_mad_u64_u32 v[10:11], s[16:17], v6, v0, v[10:11]
	v_add3_u32 v0, v4, v11, v2
	buffer_load_dword v2, off, s[0:3], s32 offset:144 ; 4-byte Folded Reload
	s_waitcnt vmcnt(0)
	v_add_co_u32_e32 v10, vcc, v10, v2
	buffer_load_dword v2, off, s[0:3], s32 offset:212 ; 4-byte Folded Reload
	s_waitcnt vmcnt(0)
	v_addc_co_u32_e32 v11, vcc, v0, v2, vcc
	buffer_load_dword v0, off, s[0:3], s32 offset:224 ; 4-byte Folded Reload
	s_waitcnt vmcnt(0)
	v_add_co_u32_e32 v56, vcc, v0, v24
	buffer_load_dword v0, off, s[0:3], s32 offset:228 ; 4-byte Folded Reload
	buffer_load_dword v20, off, s[0:3], s32 offset:104 ; 4-byte Folded Reload
	;; [unrolled: 1-line block ×5, first 2 shown]
	s_waitcnt vmcnt(4)
	v_addc_co_u32_e32 v57, vcc, v0, v25, vcc
	v_and_b32_e32 v0, 7, v36
	v_mul_lo_u32 v18, v0, s36
	v_ashrrev_i32_e32 v19, 31, v18
	v_lshlrev_b64 v[18:19], 4, v[18:19]
	s_waitcnt vmcnt(3)
	v_add_co_u32_e32 v28, vcc, v20, v18
	s_waitcnt vmcnt(2)
	v_addc_co_u32_e32 v29, vcc, v21, v19, vcc
	s_branch .LBB2_444
.LBB2_443:                              ;   in Loop: Header=BB2_444 Depth=2
	v_add_co_u32_e32 v10, vcc, v10, v13
	v_addc_co_u32_e32 v11, vcc, 0, v11, vcc
	v_add_co_u32_e32 v56, vcc, v56, v13
	v_addc_co_u32_e32 v57, vcc, 0, v57, vcc
	v_sub_u32_e32 v7, v7, v13
	v_cmp_gt_i32_e32 vcc, 1, v7
	s_or_b64 s[62:63], vcc, s[62:63]
	v_add_u32_e32 v58, v58, v1
	s_andn2_b64 exec, exec, s[62:63]
	s_cbranch_execz .LBB2_766
.LBB2_444:                              ;   Parent Loop BB2_24 Depth=1
                                        ; =>  This Loop Header: Depth=2
                                        ;       Child Loop BB2_452 Depth 3
	v_and_b32_e32 v18, -4, v10
	v_mov_b32_e32 v19, v11
	global_load_dword v0, v[18:19], off glc slc
	v_min_u32_e32 v2, 8, v7
	v_and_b32_e32 v4, 3, v10
	v_add_u32_e32 v2, v4, v2
	v_cmp_lt_u32_e32 vcc, 4, v2
	v_mov_b32_e32 v34, 0
	v_mov_b32_e32 v35, 0
	s_and_saveexec_b64 s[16:17], vcc
	s_cbranch_execz .LBB2_446
; %bb.445:                              ;   in Loop: Header=BB2_444 Depth=2
	global_load_dword v35, v[18:19], off offset:4 glc slc
.LBB2_446:                              ;   in Loop: Header=BB2_444 Depth=2
	s_or_b64 exec, exec, s[16:17]
	v_cmp_lt_u64_e32 vcc, 8, v[2:3]
	s_and_saveexec_b64 s[16:17], vcc
	s_cbranch_execz .LBB2_448
; %bb.447:                              ;   in Loop: Header=BB2_444 Depth=2
	global_load_dword v34, v[18:19], off offset:8 glc slc
.LBB2_448:                              ;   in Loop: Header=BB2_444 Depth=2
	s_or_b64 exec, exec, s[16:17]
	s_waitcnt vmcnt(0)
	v_ashrrev_i32_e32 v59, 31, v58
	v_lshlrev_b64 v[18:19], 4, v[58:59]
	v_add_co_u32_e32 v32, vcc, v28, v18
	v_addc_co_u32_e32 v33, vcc, v29, v19, vcc
	global_load_dwordx4 v[18:21], v[32:33], off glc slc
	v_cmp_eq_u32_e32 vcc, 0, v51
	s_and_saveexec_b64 s[72:73], vcc
	s_cbranch_execz .LBB2_460
; %bb.449:                              ;   in Loop: Header=BB2_444 Depth=2
	s_waitcnt vmcnt(0)
	v_cmp_ne_u32_e32 vcc, v60, v19
	v_cmp_ne_u32_e64 s[16:17], v60, v21
	s_or_b64 s[16:17], vcc, s[16:17]
	v_mov_b32_e32 v51, 0
	s_and_saveexec_b64 s[74:75], s[16:17]
	s_cbranch_execz .LBB2_459
; %bb.450:                              ;   in Loop: Header=BB2_444 Depth=2
	s_mov_b32 s26, 1
	s_mov_b64 s[78:79], 0
                                        ; implicit-def: $sgpr76_sgpr77
                                        ; implicit-def: $sgpr88_sgpr89
	s_branch .LBB2_452
.LBB2_451:                              ;   in Loop: Header=BB2_452 Depth=3
	s_or_b64 exec, exec, s[92:93]
	s_and_b64 s[16:17], exec, s[16:17]
	s_or_b64 s[78:79], s[16:17], s[78:79]
	s_andn2_b64 s[16:17], s[76:77], exec
	s_and_b64 s[76:77], s[88:89], exec
	s_or_b64 s[76:77], s[16:17], s[76:77]
	s_andn2_b64 exec, exec, s[78:79]
	s_cbranch_execz .LBB2_456
.LBB2_452:                              ;   Parent Loop BB2_24 Depth=1
                                        ;     Parent Loop BB2_444 Depth=2
                                        ; =>    This Inner Loop Header: Depth=3
	global_load_dwordx4 v[18:21], v[32:33], off glc slc
	s_add_i32 s26, s26, 1
	s_mov_b64 s[16:17], -1
	s_cmpk_lg_i32 s26, 0x2710
	s_mov_b64 s[90:91], -1
                                        ; implicit-def: $vgpr2
	s_cbranch_scc0 .LBB2_454
; %bb.453:                              ;   in Loop: Header=BB2_452 Depth=3
	s_or_b64 s[88:89], s[88:89], exec
	s_and_saveexec_b64 s[92:93], s[90:91]
	s_cbranch_execz .LBB2_451
	s_branch .LBB2_455
.LBB2_454:                              ;   in Loop: Header=BB2_452 Depth=3
	s_trap 2
	ds_read_b64 v[24:25], v0
	s_mov_b32 s26, 0
	s_waitcnt vmcnt(0) lgkmcnt(0)
	flat_load_dword v2, v[24:25] glc
	s_waitcnt vmcnt(0) lgkmcnt(0)
	buffer_wbinvl1_vol
	v_cmp_eq_u32_e32 vcc, 0, v2
	s_orn2_b64 s[90:91], vcc, exec
	s_or_b64 s[88:89], s[88:89], exec
	s_and_saveexec_b64 s[92:93], s[90:91]
	s_cbranch_execz .LBB2_451
.LBB2_455:                              ;   in Loop: Header=BB2_452 Depth=3
	s_waitcnt vmcnt(0)
	v_cmp_eq_u32_e32 vcc, v60, v19
	v_cmp_eq_u32_e64 s[16:17], v60, v21
	s_and_b64 s[16:17], vcc, s[16:17]
	s_andn2_b64 s[88:89], s[88:89], exec
	s_orn2_b64 s[16:17], s[16:17], exec
	s_branch .LBB2_451
.LBB2_456:                              ;   in Loop: Header=BB2_444 Depth=2
	s_or_b64 exec, exec, s[78:79]
	v_mov_b32_e32 v51, 0
	s_and_saveexec_b64 s[16:17], s[76:77]
	s_xor_b64 s[16:17], exec, s[16:17]
	s_cbranch_execz .LBB2_458
; %bb.457:                              ;   in Loop: Header=BB2_444 Depth=2
	v_mov_b32_e32 v51, 1
	ds_write_b32 v0, v2
	s_trap 2
.LBB2_458:                              ;   in Loop: Header=BB2_444 Depth=2
	s_or_b64 exec, exec, s[16:17]
.LBB2_459:                              ;   in Loop: Header=BB2_444 Depth=2
	s_or_b64 exec, exec, s[74:75]
.LBB2_460:                              ;   in Loop: Header=BB2_444 Depth=2
	s_or_b64 exec, exec, s[72:73]
	s_waitcnt vmcnt(0)
	v_cmp_ne_u16_sdwa s[72:73], v18, v3 src0_sel:BYTE_0 src1_sel:DWORD
	v_mov_b32_e32 v4, 0
	v_mov_b32_e32 v6, 0
	s_and_saveexec_b64 s[16:17], s[72:73]
	s_cbranch_execz .LBB2_468
; %bb.461:                              ;   in Loop: Header=BB2_444 Depth=2
	v_cmp_ne_u16_sdwa s[74:75], sext(v18), s38 src0_sel:BYTE_0 src1_sel:DWORD
	v_bfrev_b32_e32 v6, 1
	s_and_saveexec_b64 s[72:73], s[74:75]
	s_cbranch_execz .LBB2_467
; %bb.462:                              ;   in Loop: Header=BB2_444 Depth=2
	v_and_b32_e32 v6, 0x7c, v18
	v_and_b32_e32 v2, 3, v18
	v_cmp_ne_u32_e32 vcc, s39, v6
                                        ; implicit-def: $vgpr6
	s_and_saveexec_b64 s[74:75], vcc
	s_xor_b64 s[74:75], exec, s[74:75]
	s_cbranch_execz .LBB2_464
; %bb.463:                              ;   in Loop: Header=BB2_444 Depth=2
	v_ffbh_u32_e32 v24, v2
	v_min_u32_e32 v26, 32, v24
	v_bfe_u32 v6, v18, 2, 5
	v_subrev_u32_e32 v24, 29, v26
	v_lshlrev_b64 v[24:25], v24, v[18:19]
	v_sub_u32_e32 v19, 30, v26
	v_cmp_eq_u32_e32 vcc, 0, v6
	v_cndmask_b32_e32 v6, v6, v19, vcc
	v_lshlrev_b32_e32 v19, 24, v18
	v_and_b32_e32 v24, 3, v24
	v_and_b32_e32 v19, 0x80000000, v19
	v_cndmask_b32_e32 v2, v2, v24, vcc
	v_lshl_add_u32 v6, v6, 23, v19
	v_lshl_or_b32 v2, v2, 21, v6
	v_add_u32_e32 v6, 0x38000000, v2
                                        ; implicit-def: $vgpr2
.LBB2_464:                              ;   in Loop: Header=BB2_444 Depth=2
	s_andn2_saveexec_b64 s[74:75], s[74:75]
; %bb.465:                              ;   in Loop: Header=BB2_444 Depth=2
	v_cmp_gt_i16_sdwa vcc, sext(v18), v27 src0_sel:BYTE_0 src1_sel:DWORD
	v_cndmask_b32_e32 v6, v5, v8, vcc
	v_cmp_eq_u32_e32 vcc, 0, v2
	v_cndmask_b32_e32 v6, v9, v6, vcc
; %bb.466:                              ;   in Loop: Header=BB2_444 Depth=2
	s_or_b64 exec, exec, s[74:75]
.LBB2_467:                              ;   in Loop: Header=BB2_444 Depth=2
	s_or_b64 exec, exec, s[72:73]
.LBB2_468:                              ;   in Loop: Header=BB2_444 Depth=2
	s_or_b64 exec, exec, s[16:17]
	v_lshlrev_b32_e32 v33, 3, v10
	v_alignbit_b32 v2, v35, v0, v33
	v_cmp_ne_u16_sdwa s[72:73], v2, v3 src0_sel:BYTE_0 src1_sel:DWORD
	s_and_saveexec_b64 s[16:17], s[72:73]
	s_cbranch_execz .LBB2_476
; %bb.469:                              ;   in Loop: Header=BB2_444 Depth=2
	v_cmp_ne_u16_sdwa s[74:75], sext(v2), s38 src0_sel:BYTE_0 src1_sel:DWORD
	v_bfrev_b32_e32 v4, 1
	s_and_saveexec_b64 s[72:73], s[74:75]
	s_cbranch_execz .LBB2_475
; %bb.470:                              ;   in Loop: Header=BB2_444 Depth=2
	v_and_b32_e32 v4, 0x7c, v2
	v_and_b32_e32 v0, 3, v2
	v_cmp_ne_u32_e32 vcc, s39, v4
                                        ; implicit-def: $vgpr4
	s_and_saveexec_b64 s[74:75], vcc
	s_xor_b64 s[74:75], exec, s[74:75]
	s_cbranch_execz .LBB2_472
; %bb.471:                              ;   in Loop: Header=BB2_444 Depth=2
	v_ffbh_u32_e32 v19, v0
	v_min_u32_e32 v19, 32, v19
	v_bfe_u32 v4, v2, 2, 5
	v_subrev_u32_e32 v24, 29, v19
	v_lshlrev_b64 v[24:25], v24, v[2:3]
	v_sub_u32_e32 v19, 30, v19
	v_cmp_eq_u32_e32 vcc, 0, v4
	v_cndmask_b32_e32 v4, v4, v19, vcc
	v_lshlrev_b32_e32 v19, 24, v2
	v_and_b32_e32 v24, 3, v24
	v_and_b32_e32 v19, 0x80000000, v19
	v_cndmask_b32_e32 v0, v0, v24, vcc
	v_lshl_add_u32 v4, v4, 23, v19
	v_lshl_or_b32 v0, v0, 21, v4
	v_add_u32_e32 v4, 0x38000000, v0
                                        ; implicit-def: $vgpr0
.LBB2_472:                              ;   in Loop: Header=BB2_444 Depth=2
	s_andn2_saveexec_b64 s[74:75], s[74:75]
; %bb.473:                              ;   in Loop: Header=BB2_444 Depth=2
	v_cmp_gt_i16_sdwa vcc, sext(v2), v27 src0_sel:BYTE_0 src1_sel:DWORD
	v_cndmask_b32_e32 v4, v5, v8, vcc
	v_cmp_eq_u32_e32 vcc, 0, v0
	v_cndmask_b32_e32 v4, v9, v4, vcc
; %bb.474:                              ;   in Loop: Header=BB2_444 Depth=2
	s_or_b64 exec, exec, s[74:75]
.LBB2_475:                              ;   in Loop: Header=BB2_444 Depth=2
	s_or_b64 exec, exec, s[72:73]
.LBB2_476:                              ;   in Loop: Header=BB2_444 Depth=2
	s_or_b64 exec, exec, s[16:17]
	v_mul_f32_e32 v4, v6, v4
	v_and_b32_e32 v24, 0x7f800000, v4
	v_mov_b32_e32 v25, v3
	v_cmp_ne_u64_e32 vcc, s[56:57], v[24:25]
	v_and_b32_e32 v30, 0x7fffff, v4
	v_mov_b32_e32 v31, v3
                                        ; implicit-def: $vgpr26
	s_and_saveexec_b64 s[16:17], vcc
	s_xor_b64 s[72:73], exec, s[16:17]
	s_cbranch_execz .LBB2_490
; %bb.477:                              ;   in Loop: Header=BB2_444 Depth=2
	v_and_b32_e32 v24, 0x7fffffff, v4
	v_mov_b32_e32 v25, v3
	v_cmp_gt_u64_e32 vcc, s[58:59], v[24:25]
	v_and_b32_sdwa v0, v4, s48 dst_sel:DWORD dst_unused:UNUSED_PAD src0_sel:BYTE_3 src1_sel:DWORD
                                        ; implicit-def: $vgpr26
	s_and_saveexec_b64 s[16:17], vcc
	s_xor_b64 s[74:75], exec, s[16:17]
	s_cbranch_execz .LBB2_487
; %bb.478:                              ;   in Loop: Header=BB2_444 Depth=2
	v_mov_b32_e32 v26, 0
	v_cmp_ne_u32_e32 vcc, 0, v4
	s_and_saveexec_b64 s[76:77], vcc
	s_cbranch_execz .LBB2_486
; %bb.479:                              ;   in Loop: Header=BB2_444 Depth=2
	v_bfe_u32 v4, v4, 23, 8
	v_cmp_gt_u32_e64 s[16:17], s49, v4
	v_sub_u32_e32 v6, 0x71, v4
	v_cmp_eq_u32_e32 vcc, 0, v4
	v_cndmask_b32_e64 v6, 0, v6, s[16:17]
	v_or_b32_e32 v19, 0x800000, v30
	v_cndmask_b32_e32 v6, v6, v40, vcc
	v_cndmask_b32_e32 v30, v19, v30, vcc
	v_add_u32_e32 v19, 21, v6
	v_lshlrev_b64 v[24:25], v19, -1
	v_add_u32_e32 v19, 20, v6
	v_bfi_b32 v24, v24, 0, v30
	v_lshlrev_b64 v[46:47], v19, 1
	v_lshrrev_b64 v[30:31], v6, v[30:31]
	v_bfi_b32 v25, v25, 0, 0
	v_cmp_eq_u64_e64 s[16:17], v[24:25], v[46:47]
	v_mov_b32_e32 v32, v31
	v_mov_b32_e32 v31, v30
	s_and_saveexec_b64 s[78:79], s[16:17]
; %bb.480:                              ;   in Loop: Header=BB2_444 Depth=2
	v_bfe_u32 v19, v30, 21, 1
	v_add_co_u32_e64 v19, s[16:17], v30, v19
	v_add_co_u32_e64 v31, s[16:17], -1, v19
; %bb.481:                              ;   in Loop: Header=BB2_444 Depth=2
	s_or_b64 exec, exec, s[78:79]
	v_add_u32_e32 v4, 0xffffff81, v4
	v_cndmask_b32_e32 v4, v4, v41, vcc
	v_lshrrev_b32_e32 v19, 23, v30
	v_add3_u32 v19, v6, v4, v19
	v_add_u32_e32 v6, 14, v19
	v_and_b32_e32 v4, 0x1fffff, v31
	v_add_u32_e32 v30, v4, v30
	v_mov_b32_e32 v31, v3
	v_cmp_ne_u32_e32 vcc, 0, v6
                                        ; implicit-def: $vgpr4
	s_and_saveexec_b64 s[16:17], vcc
	s_xor_b64 s[16:17], exec, s[16:17]
; %bb.482:                              ;   in Loop: Header=BB2_444 Depth=2
	v_cmp_lt_u64_e32 vcc, s[60:61], v[30:31]
	v_add_u32_e32 v4, 15, v19
	v_cndmask_b32_e32 v4, v6, v4, vcc
	v_cndmask_b32_e64 v6, 0, 1, vcc
	v_lshrrev_b64 v[30:31], v6, v[30:31]
; %bb.483:                              ;   in Loop: Header=BB2_444 Depth=2
	s_andn2_saveexec_b64 s[16:17], s[16:17]
; %bb.484:                              ;   in Loop: Header=BB2_444 Depth=2
	v_bfe_u32 v4, v30, 23, 1
; %bb.485:                              ;   in Loop: Header=BB2_444 Depth=2
	s_or_b64 exec, exec, s[16:17]
	v_lshrrev_b64 v[24:25], 21, v[30:31]
	v_cmp_gt_i32_e32 vcc, 32, v4
	v_cndmask_b32_e32 v25, 0, v25, vcc
	v_cndmask_b32_e32 v24, 3, v24, vcc
	v_cmp_eq_u32_e32 vcc, 0, v4
	v_min_i32_e32 v4, 31, v4
	v_cmp_eq_u64_e64 s[16:17], 0, v[24:25]
	v_lshlrev_b32_e32 v4, 2, v4
	v_and_b32_e32 v4, 0xfc, v4
	v_and_or_b32 v4, v24, 3, v4
	s_and_b64 s[16:17], vcc, s[16:17]
	v_cndmask_b32_e64 v4, v4, 0, s[16:17]
	v_or_b32_e32 v26, v4, v0
.LBB2_486:                              ;   in Loop: Header=BB2_444 Depth=2
	s_or_b64 exec, exec, s[76:77]
                                        ; implicit-def: $vgpr0
.LBB2_487:                              ;   in Loop: Header=BB2_444 Depth=2
	s_andn2_saveexec_b64 s[16:17], s[74:75]
; %bb.488:                              ;   in Loop: Header=BB2_444 Depth=2
	v_or_b32_e32 v26, 0x7b, v0
; %bb.489:                              ;   in Loop: Header=BB2_444 Depth=2
	s_or_b64 exec, exec, s[16:17]
                                        ; implicit-def: $vgpr4
                                        ; implicit-def: $vgpr30_vgpr31
.LBB2_490:                              ;   in Loop: Header=BB2_444 Depth=2
	s_andn2_saveexec_b64 s[16:17], s[72:73]
	s_cbranch_execz .LBB2_496
; %bb.491:                              ;   in Loop: Header=BB2_444 Depth=2
	v_cmp_ne_u64_e32 vcc, 0, v[30:31]
                                        ; implicit-def: $vgpr26
	s_and_saveexec_b64 s[72:73], vcc
	s_xor_b64 s[72:73], exec, s[72:73]
; %bb.492:                              ;   in Loop: Header=BB2_444 Depth=2
	v_or_b32_sdwa v26, v4, s50 dst_sel:DWORD dst_unused:UNUSED_PAD src0_sel:BYTE_3 src1_sel:DWORD
                                        ; implicit-def: $vgpr4
; %bb.493:                              ;   in Loop: Header=BB2_444 Depth=2
	s_andn2_saveexec_b64 s[72:73], s[72:73]
; %bb.494:                              ;   in Loop: Header=BB2_444 Depth=2
	v_cmp_lt_i32_e32 vcc, -1, v4
	v_cndmask_b32_e32 v26, v12, v50, vcc
; %bb.495:                              ;   in Loop: Header=BB2_444 Depth=2
	s_or_b64 exec, exec, s[72:73]
.LBB2_496:                              ;   in Loop: Header=BB2_444 Depth=2
	s_or_b64 exec, exec, s[16:17]
	v_lshrrev_b16_e32 v30, 8, v18
	v_cmp_ne_u16_e32 vcc, 0, v30
	v_mov_b32_e32 v0, 0
	v_mov_b32_e32 v4, 0
	s_and_saveexec_b64 s[16:17], vcc
	s_cbranch_execz .LBB2_504
; %bb.497:                              ;   in Loop: Header=BB2_444 Depth=2
	v_cmp_ne_u16_e32 vcc, s48, v30
	v_bfrev_b32_e32 v4, 1
	s_and_saveexec_b64 s[72:73], vcc
	s_cbranch_execz .LBB2_503
; %bb.498:                              ;   in Loop: Header=BB2_444 Depth=2
	v_and_b32_e32 v4, 0x7c, v30
	v_and_b32_e32 v6, 3, v30
	v_cmp_ne_u32_e32 vcc, s39, v4
                                        ; implicit-def: $vgpr4
	s_and_saveexec_b64 s[74:75], vcc
	s_xor_b64 s[74:75], exec, s[74:75]
	s_cbranch_execz .LBB2_500
; %bb.499:                              ;   in Loop: Header=BB2_444 Depth=2
	v_ffbh_u32_e32 v19, v6
	v_min_u32_e32 v19, 32, v19
	v_mov_b32_e32 v31, v3
	v_bfe_u32 v4, v30, 2, 5
	v_subrev_u32_e32 v24, 29, v19
	v_lshlrev_b64 v[24:25], v24, v[30:31]
	v_sub_u32_e32 v19, 30, v19
	v_cmp_eq_u32_e32 vcc, 0, v4
	v_cndmask_b32_e32 v4, v4, v19, vcc
	v_lshlrev_b32_e32 v19, 16, v18
	v_and_b32_e32 v24, 3, v24
	v_and_b32_e32 v19, 0x80000000, v19
	v_cndmask_b32_e32 v6, v6, v24, vcc
	v_lshl_add_u32 v4, v4, 23, v19
	v_lshl_or_b32 v4, v6, 21, v4
	v_add_u32_e32 v4, 0x38000000, v4
                                        ; implicit-def: $vgpr6
.LBB2_500:                              ;   in Loop: Header=BB2_444 Depth=2
	s_andn2_saveexec_b64 s[74:75], s[74:75]
; %bb.501:                              ;   in Loop: Header=BB2_444 Depth=2
	v_cmp_lt_i16_e32 vcc, -1, v18
	v_cndmask_b32_e32 v4, v5, v8, vcc
	v_cmp_eq_u32_e32 vcc, 0, v6
	v_cndmask_b32_e32 v4, v9, v4, vcc
; %bb.502:                              ;   in Loop: Header=BB2_444 Depth=2
	s_or_b64 exec, exec, s[74:75]
.LBB2_503:                              ;   in Loop: Header=BB2_444 Depth=2
	s_or_b64 exec, exec, s[72:73]
.LBB2_504:                              ;   in Loop: Header=BB2_444 Depth=2
	s_or_b64 exec, exec, s[16:17]
	v_lshrrev_b16_e32 v30, 8, v2
	v_cmp_ne_u16_e32 vcc, 0, v30
	s_and_saveexec_b64 s[16:17], vcc
	s_cbranch_execz .LBB2_512
; %bb.505:                              ;   in Loop: Header=BB2_444 Depth=2
	v_cmp_ne_u16_e32 vcc, s48, v30
	v_bfrev_b32_e32 v0, 1
	s_and_saveexec_b64 s[72:73], vcc
	s_cbranch_execz .LBB2_511
; %bb.506:                              ;   in Loop: Header=BB2_444 Depth=2
	v_and_b32_e32 v0, 0x7c, v30
	v_and_b32_e32 v6, 3, v30
	v_cmp_ne_u32_e32 vcc, s39, v0
                                        ; implicit-def: $vgpr0
	s_and_saveexec_b64 s[74:75], vcc
	s_xor_b64 s[74:75], exec, s[74:75]
	s_cbranch_execz .LBB2_508
; %bb.507:                              ;   in Loop: Header=BB2_444 Depth=2
	v_ffbh_u32_e32 v19, v6
	v_min_u32_e32 v19, 32, v19
	v_mov_b32_e32 v31, v3
	v_bfe_u32 v0, v30, 2, 5
	v_subrev_u32_e32 v24, 29, v19
	v_lshlrev_b64 v[24:25], v24, v[30:31]
	v_sub_u32_e32 v19, 30, v19
	v_cmp_eq_u32_e32 vcc, 0, v0
	v_cndmask_b32_e32 v0, v0, v19, vcc
	v_lshlrev_b32_e32 v19, 16, v2
	v_and_b32_e32 v24, 3, v24
	v_and_b32_e32 v19, 0x80000000, v19
	v_cndmask_b32_e32 v6, v6, v24, vcc
	v_lshl_add_u32 v0, v0, 23, v19
	v_lshl_or_b32 v0, v6, 21, v0
	v_add_u32_e32 v0, 0x38000000, v0
                                        ; implicit-def: $vgpr6
.LBB2_508:                              ;   in Loop: Header=BB2_444 Depth=2
	s_andn2_saveexec_b64 s[74:75], s[74:75]
; %bb.509:                              ;   in Loop: Header=BB2_444 Depth=2
	v_cmp_lt_i16_e32 vcc, -1, v2
	v_cndmask_b32_e32 v0, v5, v8, vcc
	v_cmp_eq_u32_e32 vcc, 0, v6
	v_cndmask_b32_e32 v0, v9, v0, vcc
; %bb.510:                              ;   in Loop: Header=BB2_444 Depth=2
	s_or_b64 exec, exec, s[74:75]
.LBB2_511:                              ;   in Loop: Header=BB2_444 Depth=2
	s_or_b64 exec, exec, s[72:73]
.LBB2_512:                              ;   in Loop: Header=BB2_444 Depth=2
	s_or_b64 exec, exec, s[16:17]
	v_mul_f32_e32 v4, v4, v0
	v_and_b32_e32 v24, 0x7f800000, v4
	v_mov_b32_e32 v25, v3
	v_cmp_ne_u64_e32 vcc, s[56:57], v[24:25]
	v_and_b32_e32 v30, 0x7fffff, v4
	v_mov_b32_e32 v31, v3
                                        ; implicit-def: $vgpr6
	s_and_saveexec_b64 s[16:17], vcc
	s_xor_b64 s[72:73], exec, s[16:17]
	s_cbranch_execz .LBB2_526
; %bb.513:                              ;   in Loop: Header=BB2_444 Depth=2
	v_and_b32_e32 v24, 0x7fffffff, v4
	v_mov_b32_e32 v25, v3
	v_cmp_gt_u64_e32 vcc, s[58:59], v[24:25]
	v_and_b32_sdwa v0, v4, s48 dst_sel:DWORD dst_unused:UNUSED_PAD src0_sel:BYTE_3 src1_sel:DWORD
                                        ; implicit-def: $vgpr6
	s_and_saveexec_b64 s[16:17], vcc
	s_xor_b64 s[74:75], exec, s[16:17]
	s_cbranch_execz .LBB2_523
; %bb.514:                              ;   in Loop: Header=BB2_444 Depth=2
	v_mov_b32_e32 v6, 0
	v_cmp_ne_u32_e32 vcc, 0, v4
	s_and_saveexec_b64 s[76:77], vcc
	s_cbranch_execz .LBB2_522
; %bb.515:                              ;   in Loop: Header=BB2_444 Depth=2
	v_bfe_u32 v4, v4, 23, 8
	v_cmp_gt_u32_e64 s[16:17], s49, v4
	v_sub_u32_e32 v6, 0x71, v4
	v_cmp_eq_u32_e32 vcc, 0, v4
	v_cndmask_b32_e64 v6, 0, v6, s[16:17]
	v_or_b32_e32 v19, 0x800000, v30
	v_cndmask_b32_e32 v6, v6, v40, vcc
	v_cndmask_b32_e32 v30, v19, v30, vcc
	v_add_u32_e32 v19, 21, v6
	v_lshlrev_b64 v[24:25], v19, -1
	v_add_u32_e32 v19, 20, v6
	v_bfi_b32 v24, v24, 0, v30
	v_lshlrev_b64 v[46:47], v19, 1
	v_lshrrev_b64 v[30:31], v6, v[30:31]
	v_bfi_b32 v25, v25, 0, 0
	v_cmp_eq_u64_e64 s[16:17], v[24:25], v[46:47]
	v_mov_b32_e32 v32, v31
	v_mov_b32_e32 v31, v30
	s_and_saveexec_b64 s[78:79], s[16:17]
; %bb.516:                              ;   in Loop: Header=BB2_444 Depth=2
	v_bfe_u32 v19, v30, 21, 1
	v_add_co_u32_e64 v19, s[16:17], v30, v19
	v_add_co_u32_e64 v31, s[16:17], -1, v19
; %bb.517:                              ;   in Loop: Header=BB2_444 Depth=2
	s_or_b64 exec, exec, s[78:79]
	v_add_u32_e32 v4, 0xffffff81, v4
	v_cndmask_b32_e32 v4, v4, v41, vcc
	v_lshrrev_b32_e32 v19, 23, v30
	v_add3_u32 v19, v6, v4, v19
	v_add_u32_e32 v6, 14, v19
	v_and_b32_e32 v4, 0x1fffff, v31
	v_add_u32_e32 v30, v4, v30
	v_mov_b32_e32 v31, v3
	v_cmp_ne_u32_e32 vcc, 0, v6
                                        ; implicit-def: $vgpr4
	s_and_saveexec_b64 s[16:17], vcc
	s_xor_b64 s[16:17], exec, s[16:17]
; %bb.518:                              ;   in Loop: Header=BB2_444 Depth=2
	v_cmp_lt_u64_e32 vcc, s[60:61], v[30:31]
	v_add_u32_e32 v4, 15, v19
	v_cndmask_b32_e32 v4, v6, v4, vcc
	v_cndmask_b32_e64 v6, 0, 1, vcc
	v_lshrrev_b64 v[30:31], v6, v[30:31]
; %bb.519:                              ;   in Loop: Header=BB2_444 Depth=2
	s_andn2_saveexec_b64 s[16:17], s[16:17]
; %bb.520:                              ;   in Loop: Header=BB2_444 Depth=2
	v_bfe_u32 v4, v30, 23, 1
; %bb.521:                              ;   in Loop: Header=BB2_444 Depth=2
	s_or_b64 exec, exec, s[16:17]
	v_lshrrev_b64 v[24:25], 21, v[30:31]
	v_cmp_gt_i32_e32 vcc, 32, v4
	v_cndmask_b32_e32 v25, 0, v25, vcc
	v_cndmask_b32_e32 v24, 3, v24, vcc
	v_cmp_eq_u32_e32 vcc, 0, v4
	v_min_i32_e32 v4, 31, v4
	v_cmp_eq_u64_e64 s[16:17], 0, v[24:25]
	v_lshlrev_b32_e32 v4, 2, v4
	v_and_b32_e32 v4, 0xfc, v4
	v_and_or_b32 v4, v24, 3, v4
	s_and_b64 s[16:17], vcc, s[16:17]
	v_cndmask_b32_e64 v4, v4, 0, s[16:17]
	v_or_b32_e32 v6, v4, v0
.LBB2_522:                              ;   in Loop: Header=BB2_444 Depth=2
	s_or_b64 exec, exec, s[76:77]
                                        ; implicit-def: $vgpr0
.LBB2_523:                              ;   in Loop: Header=BB2_444 Depth=2
	s_andn2_saveexec_b64 s[16:17], s[74:75]
; %bb.524:                              ;   in Loop: Header=BB2_444 Depth=2
	v_or_b32_e32 v6, 0x7b, v0
; %bb.525:                              ;   in Loop: Header=BB2_444 Depth=2
	s_or_b64 exec, exec, s[16:17]
                                        ; implicit-def: $vgpr4
                                        ; implicit-def: $vgpr30_vgpr31
.LBB2_526:                              ;   in Loop: Header=BB2_444 Depth=2
	s_andn2_saveexec_b64 s[16:17], s[72:73]
	s_cbranch_execz .LBB2_532
; %bb.527:                              ;   in Loop: Header=BB2_444 Depth=2
	v_cmp_ne_u64_e32 vcc, 0, v[30:31]
                                        ; implicit-def: $vgpr6
	s_and_saveexec_b64 s[72:73], vcc
	s_xor_b64 s[72:73], exec, s[72:73]
; %bb.528:                              ;   in Loop: Header=BB2_444 Depth=2
	v_or_b32_sdwa v6, v4, s50 dst_sel:DWORD dst_unused:UNUSED_PAD src0_sel:BYTE_3 src1_sel:DWORD
                                        ; implicit-def: $vgpr4
; %bb.529:                              ;   in Loop: Header=BB2_444 Depth=2
	s_andn2_saveexec_b64 s[72:73], s[72:73]
; %bb.530:                              ;   in Loop: Header=BB2_444 Depth=2
	v_cmp_lt_i32_e32 vcc, -1, v4
	v_cndmask_b32_e32 v6, v12, v50, vcc
; %bb.531:                              ;   in Loop: Header=BB2_444 Depth=2
	s_or_b64 exec, exec, s[72:73]
.LBB2_532:                              ;   in Loop: Header=BB2_444 Depth=2
	s_or_b64 exec, exec, s[16:17]
	v_lshrrev_b32_e32 v0, 16, v18
	v_cmp_ne_u16_sdwa s[72:73], v0, v3 src0_sel:BYTE_0 src1_sel:DWORD
	v_mov_b32_e32 v19, 0
	v_mov_b32_e32 v4, 0
	s_and_saveexec_b64 s[16:17], s[72:73]
	s_cbranch_execz .LBB2_540
; %bb.533:                              ;   in Loop: Header=BB2_444 Depth=2
	v_cmp_ne_u16_sdwa s[74:75], v0, s48 src0_sel:BYTE_0 src1_sel:DWORD
	v_bfrev_b32_e32 v4, 1
	s_and_saveexec_b64 s[72:73], s[74:75]
	s_cbranch_execz .LBB2_539
; %bb.534:                              ;   in Loop: Header=BB2_444 Depth=2
	v_and_b32_e32 v4, 0x7c0000, v18
	v_bfe_u32 v24, v18, 16, 2
	v_cmp_ne_u32_e32 vcc, s51, v4
                                        ; implicit-def: $vgpr4
	s_and_saveexec_b64 s[74:75], vcc
	s_xor_b64 s[74:75], exec, s[74:75]
	s_cbranch_execz .LBB2_536
; %bb.535:                              ;   in Loop: Header=BB2_444 Depth=2
	v_ffbh_u32_e32 v25, v24
	v_min_u32_e32 v25, 32, v25
	v_subrev_u32_e32 v30, 29, v25
	v_lshlrev_b64 v[30:31], v30, v[0:1]
	v_bfe_u32 v4, v18, 18, 5
	v_sub_u32_e32 v0, 30, v25
	v_and_b32_e32 v25, 3, v30
	v_cmp_eq_u32_e32 vcc, 0, v4
	v_cndmask_b32_e32 v0, v4, v0, vcc
	v_cndmask_b32_e32 v4, v24, v25, vcc
	v_lshlrev_b32_e32 v24, 8, v18
	v_and_b32_e32 v24, 0x80000000, v24
	v_lshl_add_u32 v0, v0, 23, v24
	v_lshl_or_b32 v0, v4, 21, v0
	v_add_u32_e32 v4, 0x38000000, v0
                                        ; implicit-def: $vgpr24
                                        ; implicit-def: $vgpr0
.LBB2_536:                              ;   in Loop: Header=BB2_444 Depth=2
	s_andn2_saveexec_b64 s[74:75], s[74:75]
; %bb.537:                              ;   in Loop: Header=BB2_444 Depth=2
	v_cmp_gt_i16_sdwa vcc, sext(v0), v27 src0_sel:BYTE_0 src1_sel:DWORD
	v_cndmask_b32_e32 v0, v5, v8, vcc
	v_cmp_eq_u32_e32 vcc, 0, v24
	v_cndmask_b32_e32 v4, v9, v0, vcc
; %bb.538:                              ;   in Loop: Header=BB2_444 Depth=2
	s_or_b64 exec, exec, s[74:75]
.LBB2_539:                              ;   in Loop: Header=BB2_444 Depth=2
	s_or_b64 exec, exec, s[72:73]
.LBB2_540:                              ;   in Loop: Header=BB2_444 Depth=2
	s_or_b64 exec, exec, s[16:17]
	v_and_b32_sdwa v24, v2, s37 dst_sel:DWORD dst_unused:UNUSED_PAD src0_sel:WORD_1 src1_sel:DWORD
	v_lshrrev_b32_e32 v0, 16, v2
	v_cmp_ne_u16_e32 vcc, 0, v24
	s_and_saveexec_b64 s[16:17], vcc
	s_cbranch_execz .LBB2_548
; %bb.541:                              ;   in Loop: Header=BB2_444 Depth=2
	v_cmp_ne_u16_e32 vcc, s48, v24
	v_bfrev_b32_e32 v19, 1
	s_and_saveexec_b64 s[72:73], vcc
	s_cbranch_execz .LBB2_547
; %bb.542:                              ;   in Loop: Header=BB2_444 Depth=2
	v_and_b32_e32 v19, 0x7c0000, v2
	v_bfe_u32 v24, v2, 16, 2
	v_cmp_ne_u32_e32 vcc, s51, v19
                                        ; implicit-def: $vgpr19
	s_and_saveexec_b64 s[74:75], vcc
	s_xor_b64 s[74:75], exec, s[74:75]
	s_cbranch_execz .LBB2_544
; %bb.543:                              ;   in Loop: Header=BB2_444 Depth=2
	v_ffbh_u32_e32 v25, v24
	v_min_u32_e32 v25, 32, v25
	v_lshrrev_b32_e32 v0, 16, v2
	v_subrev_u32_e32 v30, 29, v25
	v_lshlrev_b64 v[30:31], v30, v[0:1]
	v_bfe_u32 v19, v2, 18, 5
	v_sub_u32_e32 v0, 30, v25
	v_and_b32_e32 v25, 3, v30
	v_cmp_eq_u32_e32 vcc, 0, v19
	v_cndmask_b32_e32 v0, v19, v0, vcc
	v_cndmask_b32_e32 v19, v24, v25, vcc
	v_lshlrev_b32_e32 v24, 8, v2
	v_and_b32_e32 v24, 0x80000000, v24
	v_lshl_add_u32 v0, v0, 23, v24
	v_lshl_or_b32 v0, v19, 21, v0
	v_add_u32_e32 v19, 0x38000000, v0
                                        ; implicit-def: $vgpr24
                                        ; implicit-def: $vgpr0
.LBB2_544:                              ;   in Loop: Header=BB2_444 Depth=2
	s_andn2_saveexec_b64 s[74:75], s[74:75]
; %bb.545:                              ;   in Loop: Header=BB2_444 Depth=2
	v_cmp_gt_i16_sdwa vcc, sext(v0), v27 src0_sel:BYTE_0 src1_sel:DWORD
	v_cndmask_b32_e32 v0, v5, v8, vcc
	v_cmp_eq_u32_e32 vcc, 0, v24
	v_cndmask_b32_e32 v19, v9, v0, vcc
; %bb.546:                              ;   in Loop: Header=BB2_444 Depth=2
	s_or_b64 exec, exec, s[74:75]
.LBB2_547:                              ;   in Loop: Header=BB2_444 Depth=2
	s_or_b64 exec, exec, s[72:73]
.LBB2_548:                              ;   in Loop: Header=BB2_444 Depth=2
	s_or_b64 exec, exec, s[16:17]
	v_mul_f32_e32 v4, v4, v19
	v_and_b32_e32 v24, 0x7f800000, v4
	v_mov_b32_e32 v25, v3
	v_cmp_ne_u64_e32 vcc, s[56:57], v[24:25]
	v_and_b32_e32 v30, 0x7fffff, v4
	v_mov_b32_e32 v31, v3
                                        ; implicit-def: $vgpr32
	s_and_saveexec_b64 s[16:17], vcc
	s_xor_b64 s[72:73], exec, s[16:17]
	s_cbranch_execz .LBB2_562
; %bb.549:                              ;   in Loop: Header=BB2_444 Depth=2
	v_and_b32_e32 v24, 0x7fffffff, v4
	v_mov_b32_e32 v25, v3
	v_cmp_gt_u64_e32 vcc, s[58:59], v[24:25]
	v_and_b32_sdwa v0, v4, s48 dst_sel:DWORD dst_unused:UNUSED_PAD src0_sel:BYTE_3 src1_sel:DWORD
                                        ; implicit-def: $vgpr32
	s_and_saveexec_b64 s[16:17], vcc
	s_xor_b64 s[74:75], exec, s[16:17]
	s_cbranch_execz .LBB2_559
; %bb.550:                              ;   in Loop: Header=BB2_444 Depth=2
	v_mov_b32_e32 v32, 0
	v_cmp_ne_u32_e32 vcc, 0, v4
	s_and_saveexec_b64 s[76:77], vcc
	s_cbranch_execz .LBB2_558
; %bb.551:                              ;   in Loop: Header=BB2_444 Depth=2
	v_bfe_u32 v4, v4, 23, 8
	v_cmp_gt_u32_e64 s[16:17], s49, v4
	v_sub_u32_e32 v19, 0x71, v4
	v_cmp_eq_u32_e32 vcc, 0, v4
	v_cndmask_b32_e64 v19, 0, v19, s[16:17]
	v_or_b32_e32 v24, 0x800000, v30
	v_cndmask_b32_e32 v19, v19, v40, vcc
	v_cndmask_b32_e32 v30, v24, v30, vcc
	v_add_u32_e32 v24, 21, v19
	v_lshlrev_b64 v[24:25], v24, -1
	v_add_u32_e32 v32, 20, v19
	v_bfi_b32 v24, v24, 0, v30
	v_lshlrev_b64 v[46:47], v32, 1
	v_lshrrev_b64 v[30:31], v19, v[30:31]
	v_bfi_b32 v25, v25, 0, 0
	v_cmp_eq_u64_e64 s[16:17], v[24:25], v[46:47]
	v_mov_b32_e32 v32, v31
	v_mov_b32_e32 v31, v30
	s_and_saveexec_b64 s[78:79], s[16:17]
; %bb.552:                              ;   in Loop: Header=BB2_444 Depth=2
	v_bfe_u32 v24, v30, 21, 1
	v_add_co_u32_e64 v24, s[16:17], v30, v24
	v_add_co_u32_e64 v31, s[16:17], -1, v24
; %bb.553:                              ;   in Loop: Header=BB2_444 Depth=2
	s_or_b64 exec, exec, s[78:79]
	v_add_u32_e32 v4, 0xffffff81, v4
	v_cndmask_b32_e32 v4, v4, v41, vcc
	v_lshrrev_b32_e32 v24, 23, v30
	v_add3_u32 v24, v19, v4, v24
	v_add_u32_e32 v19, 14, v24
	v_and_b32_e32 v4, 0x1fffff, v31
	v_add_u32_e32 v30, v4, v30
	v_mov_b32_e32 v31, v3
	v_cmp_ne_u32_e32 vcc, 0, v19
                                        ; implicit-def: $vgpr4
	s_and_saveexec_b64 s[16:17], vcc
	s_xor_b64 s[16:17], exec, s[16:17]
; %bb.554:                              ;   in Loop: Header=BB2_444 Depth=2
	v_cmp_lt_u64_e32 vcc, s[60:61], v[30:31]
	v_add_u32_e32 v4, 15, v24
	v_cndmask_b32_e32 v4, v19, v4, vcc
	v_cndmask_b32_e64 v19, 0, 1, vcc
	v_lshrrev_b64 v[30:31], v19, v[30:31]
; %bb.555:                              ;   in Loop: Header=BB2_444 Depth=2
	s_andn2_saveexec_b64 s[16:17], s[16:17]
; %bb.556:                              ;   in Loop: Header=BB2_444 Depth=2
	v_bfe_u32 v4, v30, 23, 1
; %bb.557:                              ;   in Loop: Header=BB2_444 Depth=2
	s_or_b64 exec, exec, s[16:17]
	v_lshrrev_b64 v[24:25], 21, v[30:31]
	v_cmp_gt_i32_e32 vcc, 32, v4
	v_cndmask_b32_e32 v25, 0, v25, vcc
	v_cndmask_b32_e32 v24, 3, v24, vcc
	v_cmp_eq_u32_e32 vcc, 0, v4
	v_min_i32_e32 v4, 31, v4
	v_cmp_eq_u64_e64 s[16:17], 0, v[24:25]
	v_lshlrev_b32_e32 v4, 2, v4
	v_and_b32_e32 v4, 0xfc, v4
	v_and_or_b32 v4, v24, 3, v4
	s_and_b64 s[16:17], vcc, s[16:17]
	v_cndmask_b32_e64 v4, v4, 0, s[16:17]
	v_or_b32_e32 v32, v4, v0
.LBB2_558:                              ;   in Loop: Header=BB2_444 Depth=2
	s_or_b64 exec, exec, s[76:77]
                                        ; implicit-def: $vgpr0
.LBB2_559:                              ;   in Loop: Header=BB2_444 Depth=2
	s_andn2_saveexec_b64 s[16:17], s[74:75]
; %bb.560:                              ;   in Loop: Header=BB2_444 Depth=2
	v_or_b32_e32 v32, 0x7b, v0
; %bb.561:                              ;   in Loop: Header=BB2_444 Depth=2
	s_or_b64 exec, exec, s[16:17]
                                        ; implicit-def: $vgpr4
                                        ; implicit-def: $vgpr30_vgpr31
.LBB2_562:                              ;   in Loop: Header=BB2_444 Depth=2
	s_andn2_saveexec_b64 s[16:17], s[72:73]
	s_cbranch_execz .LBB2_568
; %bb.563:                              ;   in Loop: Header=BB2_444 Depth=2
	v_cmp_ne_u64_e32 vcc, 0, v[30:31]
                                        ; implicit-def: $vgpr32
	s_and_saveexec_b64 s[72:73], vcc
	s_xor_b64 s[72:73], exec, s[72:73]
; %bb.564:                              ;   in Loop: Header=BB2_444 Depth=2
	v_or_b32_sdwa v32, v4, s50 dst_sel:DWORD dst_unused:UNUSED_PAD src0_sel:BYTE_3 src1_sel:DWORD
                                        ; implicit-def: $vgpr4
; %bb.565:                              ;   in Loop: Header=BB2_444 Depth=2
	s_andn2_saveexec_b64 s[72:73], s[72:73]
; %bb.566:                              ;   in Loop: Header=BB2_444 Depth=2
	v_cmp_lt_i32_e32 vcc, -1, v4
	v_cndmask_b32_e32 v32, v12, v50, vcc
; %bb.567:                              ;   in Loop: Header=BB2_444 Depth=2
	s_or_b64 exec, exec, s[72:73]
.LBB2_568:                              ;   in Loop: Header=BB2_444 Depth=2
	s_or_b64 exec, exec, s[16:17]
	v_cmp_lt_u32_e32 vcc, s47, v18
	v_mov_b32_e32 v4, 0
	v_mov_b32_e32 v19, 0
	s_and_saveexec_b64 s[16:17], vcc
	s_cbranch_execz .LBB2_576
; %bb.569:                              ;   in Loop: Header=BB2_444 Depth=2
	v_lshrrev_b32_e32 v0, 24, v18
	v_cmp_ne_u32_e32 vcc, s48, v0
	v_bfrev_b32_e32 v19, 1
	s_and_saveexec_b64 s[72:73], vcc
	s_cbranch_execz .LBB2_575
; %bb.570:                              ;   in Loop: Header=BB2_444 Depth=2
	v_and_b32_e32 v19, 0x7c000000, v18
	v_bfe_u32 v24, v18, 24, 2
	v_cmp_ne_u32_e32 vcc, s52, v19
                                        ; implicit-def: $vgpr19
	s_and_saveexec_b64 s[74:75], vcc
	s_xor_b64 s[74:75], exec, s[74:75]
	s_cbranch_execz .LBB2_572
; %bb.571:                              ;   in Loop: Header=BB2_444 Depth=2
	v_ffbh_u32_e32 v25, v24
	v_min_u32_e32 v25, 32, v25
	v_subrev_u32_e32 v30, 29, v25
	v_bfe_u32 v19, v18, 26, 5
	v_lshlrev_b64 v[30:31], v30, v[0:1]
	v_sub_u32_e32 v0, 30, v25
	v_cmp_eq_u32_e32 vcc, 0, v19
	v_and_b32_e32 v25, 3, v30
	v_cndmask_b32_e32 v0, v19, v0, vcc
	v_and_b32_e32 v18, 0x80000000, v18
	v_cndmask_b32_e32 v19, v24, v25, vcc
	v_lshl_add_u32 v0, v0, 23, v18
	v_lshl_or_b32 v0, v19, 21, v0
	v_add_u32_e32 v19, 0x38000000, v0
                                        ; implicit-def: $vgpr24
.LBB2_572:                              ;   in Loop: Header=BB2_444 Depth=2
	s_andn2_saveexec_b64 s[74:75], s[74:75]
; %bb.573:                              ;   in Loop: Header=BB2_444 Depth=2
	v_cmp_lt_i32_e32 vcc, -1, v18
	v_cndmask_b32_e32 v0, v5, v8, vcc
	v_cmp_eq_u32_e32 vcc, 0, v24
	v_cndmask_b32_e32 v19, v9, v0, vcc
; %bb.574:                              ;   in Loop: Header=BB2_444 Depth=2
	s_or_b64 exec, exec, s[74:75]
.LBB2_575:                              ;   in Loop: Header=BB2_444 Depth=2
	s_or_b64 exec, exec, s[72:73]
.LBB2_576:                              ;   in Loop: Header=BB2_444 Depth=2
	s_or_b64 exec, exec, s[16:17]
	v_cmp_lt_u32_e32 vcc, s47, v2
	s_and_saveexec_b64 s[16:17], vcc
	s_cbranch_execz .LBB2_584
; %bb.577:                              ;   in Loop: Header=BB2_444 Depth=2
	v_lshrrev_b32_e32 v0, 24, v2
	v_cmp_ne_u32_e32 vcc, s48, v0
	v_bfrev_b32_e32 v4, 1
	s_and_saveexec_b64 s[72:73], vcc
	s_cbranch_execz .LBB2_583
; %bb.578:                              ;   in Loop: Header=BB2_444 Depth=2
	v_and_b32_e32 v4, 0x7c000000, v2
	v_bfe_u32 v18, v2, 24, 2
	v_cmp_ne_u32_e32 vcc, s52, v4
                                        ; implicit-def: $vgpr4
	s_and_saveexec_b64 s[74:75], vcc
	s_xor_b64 s[74:75], exec, s[74:75]
	s_cbranch_execz .LBB2_580
; %bb.579:                              ;   in Loop: Header=BB2_444 Depth=2
	v_ffbh_u32_e32 v24, v18
	v_min_u32_e32 v30, 32, v24
	v_subrev_u32_e32 v24, 29, v30
	v_bfe_u32 v4, v2, 26, 5
	v_lshlrev_b64 v[24:25], v24, v[0:1]
	v_sub_u32_e32 v0, 30, v30
	v_cmp_eq_u32_e32 vcc, 0, v4
	v_and_b32_e32 v24, 3, v24
	v_cndmask_b32_e32 v0, v4, v0, vcc
	v_and_b32_e32 v2, 0x80000000, v2
	v_cndmask_b32_e32 v4, v18, v24, vcc
	v_lshl_add_u32 v0, v0, 23, v2
	v_lshl_or_b32 v0, v4, 21, v0
	v_add_u32_e32 v4, 0x38000000, v0
                                        ; implicit-def: $vgpr18
.LBB2_580:                              ;   in Loop: Header=BB2_444 Depth=2
	s_andn2_saveexec_b64 s[74:75], s[74:75]
; %bb.581:                              ;   in Loop: Header=BB2_444 Depth=2
	v_cmp_lt_i32_e32 vcc, -1, v2
	v_cndmask_b32_e32 v0, v5, v8, vcc
	v_cmp_eq_u32_e32 vcc, 0, v18
	v_cndmask_b32_e32 v4, v9, v0, vcc
; %bb.582:                              ;   in Loop: Header=BB2_444 Depth=2
	s_or_b64 exec, exec, s[74:75]
.LBB2_583:                              ;   in Loop: Header=BB2_444 Depth=2
	s_or_b64 exec, exec, s[72:73]
.LBB2_584:                              ;   in Loop: Header=BB2_444 Depth=2
	s_or_b64 exec, exec, s[16:17]
	v_mul_f32_e32 v18, v19, v4
	v_and_b32_e32 v24, 0x7f800000, v18
	v_mov_b32_e32 v25, v3
	v_cmp_ne_u64_e32 vcc, s[56:57], v[24:25]
	v_and_b32_e32 v2, 0x7fffff, v18
                                        ; implicit-def: $vgpr4
	s_and_saveexec_b64 s[16:17], vcc
	s_xor_b64 s[72:73], exec, s[16:17]
	s_cbranch_execz .LBB2_598
; %bb.585:                              ;   in Loop: Header=BB2_444 Depth=2
	v_and_b32_e32 v24, 0x7fffffff, v18
	v_mov_b32_e32 v25, v3
	v_cmp_gt_u64_e32 vcc, s[58:59], v[24:25]
	v_and_b32_sdwa v0, v18, s48 dst_sel:DWORD dst_unused:UNUSED_PAD src0_sel:BYTE_3 src1_sel:DWORD
                                        ; implicit-def: $vgpr4
	s_and_saveexec_b64 s[16:17], vcc
	s_xor_b64 s[74:75], exec, s[16:17]
	s_cbranch_execz .LBB2_595
; %bb.586:                              ;   in Loop: Header=BB2_444 Depth=2
	v_mov_b32_e32 v4, 0
	v_cmp_ne_u32_e32 vcc, 0, v18
	s_and_saveexec_b64 s[76:77], vcc
	s_cbranch_execz .LBB2_594
; %bb.587:                              ;   in Loop: Header=BB2_444 Depth=2
	v_bfe_u32 v4, v18, 23, 8
	v_cmp_gt_u32_e64 s[16:17], s49, v4
	v_sub_u32_e32 v18, 0x71, v4
	v_cmp_eq_u32_e32 vcc, 0, v4
	v_cndmask_b32_e64 v18, 0, v18, s[16:17]
	v_cndmask_b32_e32 v24, v18, v40, vcc
	v_or_b32_e32 v19, 0x800000, v2
	v_add_u32_e32 v18, 21, v24
	v_cndmask_b32_e32 v2, v19, v2, vcc
	v_lshlrev_b64 v[18:19], v18, -1
	v_add_u32_e32 v25, 20, v24
	v_lshlrev_b64 v[30:31], v25, 1
	v_bfi_b32 v19, v19, 0, 0
	v_bfi_b32 v18, v18, 0, v2
	v_cmp_eq_u64_e64 s[16:17], v[18:19], v[30:31]
	v_lshrrev_b64 v[18:19], v24, v[2:3]
	v_mov_b32_e32 v31, v19
	v_mov_b32_e32 v30, v18
	s_and_saveexec_b64 s[78:79], s[16:17]
; %bb.588:                              ;   in Loop: Header=BB2_444 Depth=2
	v_bfe_u32 v2, v18, 21, 1
	v_add_co_u32_e64 v2, s[16:17], v18, v2
	v_add_co_u32_e64 v30, s[16:17], -1, v2
; %bb.589:                              ;   in Loop: Header=BB2_444 Depth=2
	s_or_b64 exec, exec, s[78:79]
	v_add_u32_e32 v2, 0xffffff81, v4
	v_cndmask_b32_e32 v2, v2, v41, vcc
	v_lshrrev_b32_e32 v4, 23, v18
	v_add3_u32 v25, v24, v2, v4
	v_add_u32_e32 v24, 14, v25
	v_and_b32_e32 v2, 0x1fffff, v30
	v_add_u32_e32 v2, v2, v18
	v_cmp_ne_u32_e32 vcc, 0, v24
                                        ; implicit-def: $vgpr18_vgpr19
                                        ; implicit-def: $vgpr4
	s_and_saveexec_b64 s[16:17], vcc
	s_xor_b64 s[16:17], exec, s[16:17]
; %bb.590:                              ;   in Loop: Header=BB2_444 Depth=2
	v_cmp_lt_u64_e32 vcc, s[60:61], v[2:3]
	v_add_u32_e32 v4, 15, v25
	v_cndmask_b32_e64 v18, 0, 1, vcc
	v_cndmask_b32_e32 v4, v24, v4, vcc
	v_lshrrev_b64 v[18:19], v18, v[2:3]
; %bb.591:                              ;   in Loop: Header=BB2_444 Depth=2
	s_andn2_saveexec_b64 s[16:17], s[16:17]
; %bb.592:                              ;   in Loop: Header=BB2_444 Depth=2
	v_mov_b32_e32 v19, v3
	v_bfe_u32 v4, v2, 23, 1
	v_mov_b32_e32 v18, v2
; %bb.593:                              ;   in Loop: Header=BB2_444 Depth=2
	s_or_b64 exec, exec, s[16:17]
	v_lshrrev_b64 v[18:19], 21, v[18:19]
	v_cmp_gt_i32_e32 vcc, 32, v4
	v_cndmask_b32_e32 v19, 0, v19, vcc
	v_cndmask_b32_e32 v18, 3, v18, vcc
	v_min_i32_e32 v2, 31, v4
	v_cmp_eq_u64_e64 s[16:17], 0, v[18:19]
	v_lshlrev_b32_e32 v2, 2, v2
	v_cmp_eq_u32_e32 vcc, 0, v4
	v_and_b32_e32 v2, 0xfc, v2
	v_and_or_b32 v2, v18, 3, v2
	s_and_b64 s[16:17], vcc, s[16:17]
	v_cndmask_b32_e64 v2, v2, 0, s[16:17]
	v_or_b32_e32 v4, v2, v0
.LBB2_594:                              ;   in Loop: Header=BB2_444 Depth=2
	s_or_b64 exec, exec, s[76:77]
                                        ; implicit-def: $vgpr0
.LBB2_595:                              ;   in Loop: Header=BB2_444 Depth=2
	s_andn2_saveexec_b64 s[16:17], s[74:75]
; %bb.596:                              ;   in Loop: Header=BB2_444 Depth=2
	v_or_b32_e32 v4, 0x7b, v0
; %bb.597:                              ;   in Loop: Header=BB2_444 Depth=2
	s_or_b64 exec, exec, s[16:17]
                                        ; implicit-def: $vgpr18
.LBB2_598:                              ;   in Loop: Header=BB2_444 Depth=2
	s_andn2_saveexec_b64 s[16:17], s[72:73]
	s_cbranch_execz .LBB2_604
; %bb.599:                              ;   in Loop: Header=BB2_444 Depth=2
	v_cmp_ne_u64_e32 vcc, 0, v[2:3]
                                        ; implicit-def: $vgpr4
	s_and_saveexec_b64 s[72:73], vcc
	s_xor_b64 s[72:73], exec, s[72:73]
; %bb.600:                              ;   in Loop: Header=BB2_444 Depth=2
	v_or_b32_sdwa v4, v18, s50 dst_sel:DWORD dst_unused:UNUSED_PAD src0_sel:BYTE_3 src1_sel:DWORD
                                        ; implicit-def: $vgpr18
; %bb.601:                              ;   in Loop: Header=BB2_444 Depth=2
	s_andn2_saveexec_b64 s[72:73], s[72:73]
; %bb.602:                              ;   in Loop: Header=BB2_444 Depth=2
	v_cmp_lt_i32_e32 vcc, -1, v18
	v_cndmask_b32_e32 v4, v12, v50, vcc
; %bb.603:                              ;   in Loop: Header=BB2_444 Depth=2
	s_or_b64 exec, exec, s[72:73]
.LBB2_604:                              ;   in Loop: Header=BB2_444 Depth=2
	s_or_b64 exec, exec, s[16:17]
	v_cmp_ne_u16_sdwa s[72:73], v20, v3 src0_sel:BYTE_0 src1_sel:DWORD
	v_mov_b32_e32 v0, 0
	v_mov_b32_e32 v18, 0
	s_and_saveexec_b64 s[16:17], s[72:73]
	s_cbranch_execz .LBB2_612
; %bb.605:                              ;   in Loop: Header=BB2_444 Depth=2
	v_cmp_ne_u16_sdwa s[74:75], sext(v20), s38 src0_sel:BYTE_0 src1_sel:DWORD
	v_bfrev_b32_e32 v18, 1
	s_and_saveexec_b64 s[72:73], s[74:75]
	s_cbranch_execz .LBB2_611
; %bb.606:                              ;   in Loop: Header=BB2_444 Depth=2
	v_and_b32_e32 v18, 0x7c, v20
	v_and_b32_e32 v2, 3, v20
	v_cmp_ne_u32_e32 vcc, s39, v18
                                        ; implicit-def: $vgpr18
	s_and_saveexec_b64 s[74:75], vcc
	s_xor_b64 s[74:75], exec, s[74:75]
	s_cbranch_execz .LBB2_608
; %bb.607:                              ;   in Loop: Header=BB2_444 Depth=2
	v_ffbh_u32_e32 v18, v2
	v_min_u32_e32 v25, 32, v18
	v_subrev_u32_e32 v18, 29, v25
	v_lshlrev_b64 v[18:19], v18, v[20:21]
	v_bfe_u32 v24, v20, 2, 5
	v_and_b32_e32 v18, 3, v18
	v_cmp_eq_u32_e32 vcc, 0, v24
	v_sub_u32_e32 v19, 30, v25
	v_cndmask_b32_e32 v2, v2, v18, vcc
	v_lshlrev_b32_e32 v18, 24, v20
	v_cndmask_b32_e32 v19, v24, v19, vcc
	v_and_b32_e32 v18, 0x80000000, v18
	v_lshl_add_u32 v18, v19, 23, v18
	v_lshl_or_b32 v2, v2, 21, v18
	v_add_u32_e32 v18, 0x38000000, v2
                                        ; implicit-def: $vgpr2
.LBB2_608:                              ;   in Loop: Header=BB2_444 Depth=2
	s_andn2_saveexec_b64 s[74:75], s[74:75]
; %bb.609:                              ;   in Loop: Header=BB2_444 Depth=2
	v_cmp_gt_i16_sdwa vcc, sext(v20), v27 src0_sel:BYTE_0 src1_sel:DWORD
	v_cndmask_b32_e32 v18, v5, v8, vcc
	v_cmp_eq_u32_e32 vcc, 0, v2
	v_cndmask_b32_e32 v18, v9, v18, vcc
; %bb.610:                              ;   in Loop: Header=BB2_444 Depth=2
	s_or_b64 exec, exec, s[74:75]
.LBB2_611:                              ;   in Loop: Header=BB2_444 Depth=2
	s_or_b64 exec, exec, s[72:73]
.LBB2_612:                              ;   in Loop: Header=BB2_444 Depth=2
	s_or_b64 exec, exec, s[16:17]
	v_alignbit_b32 v2, v34, v35, v33
	v_cmp_ne_u16_sdwa s[72:73], v2, v3 src0_sel:BYTE_0 src1_sel:DWORD
	s_and_saveexec_b64 s[16:17], s[72:73]
	s_cbranch_execz .LBB2_620
; %bb.613:                              ;   in Loop: Header=BB2_444 Depth=2
	v_cmp_ne_u16_sdwa s[74:75], sext(v2), s38 src0_sel:BYTE_0 src1_sel:DWORD
	v_bfrev_b32_e32 v0, 1
	s_and_saveexec_b64 s[72:73], s[74:75]
	s_cbranch_execz .LBB2_619
; %bb.614:                              ;   in Loop: Header=BB2_444 Depth=2
	v_and_b32_e32 v0, 0x7c, v2
	v_and_b32_e32 v19, 3, v2
	v_cmp_ne_u32_e32 vcc, s39, v0
                                        ; implicit-def: $vgpr0
	s_and_saveexec_b64 s[74:75], vcc
	s_xor_b64 s[74:75], exec, s[74:75]
	s_cbranch_execz .LBB2_616
; %bb.615:                              ;   in Loop: Header=BB2_444 Depth=2
	v_ffbh_u32_e32 v21, v19
	v_min_u32_e32 v21, 32, v21
	v_bfe_u32 v0, v2, 2, 5
	v_subrev_u32_e32 v24, 29, v21
	v_lshlrev_b64 v[24:25], v24, v[2:3]
	v_sub_u32_e32 v21, 30, v21
	v_cmp_eq_u32_e32 vcc, 0, v0
	v_cndmask_b32_e32 v0, v0, v21, vcc
	v_lshlrev_b32_e32 v21, 24, v2
	v_and_b32_e32 v24, 3, v24
	v_and_b32_e32 v21, 0x80000000, v21
	v_cndmask_b32_e32 v19, v19, v24, vcc
	v_lshl_add_u32 v0, v0, 23, v21
	v_lshl_or_b32 v0, v19, 21, v0
	v_add_u32_e32 v0, 0x38000000, v0
                                        ; implicit-def: $vgpr19
.LBB2_616:                              ;   in Loop: Header=BB2_444 Depth=2
	s_andn2_saveexec_b64 s[74:75], s[74:75]
; %bb.617:                              ;   in Loop: Header=BB2_444 Depth=2
	v_cmp_gt_i16_sdwa vcc, sext(v2), v27 src0_sel:BYTE_0 src1_sel:DWORD
	v_cndmask_b32_e32 v0, v5, v8, vcc
	v_cmp_eq_u32_e32 vcc, 0, v19
	v_cndmask_b32_e32 v0, v9, v0, vcc
; %bb.618:                              ;   in Loop: Header=BB2_444 Depth=2
	s_or_b64 exec, exec, s[74:75]
.LBB2_619:                              ;   in Loop: Header=BB2_444 Depth=2
	s_or_b64 exec, exec, s[72:73]
.LBB2_620:                              ;   in Loop: Header=BB2_444 Depth=2
	s_or_b64 exec, exec, s[16:17]
	v_mul_f32_e32 v24, v18, v0
	v_and_b32_e32 v30, 0x7f800000, v24
	v_mov_b32_e32 v31, v3
	v_cmp_ne_u64_e32 vcc, s[56:57], v[30:31]
	v_and_b32_e32 v18, 0x7fffff, v24
	v_mov_b32_e32 v19, v3
                                        ; implicit-def: $vgpr21
	s_and_saveexec_b64 s[16:17], vcc
	s_xor_b64 s[72:73], exec, s[16:17]
	s_cbranch_execz .LBB2_634
; %bb.621:                              ;   in Loop: Header=BB2_444 Depth=2
	v_and_b32_e32 v30, 0x7fffffff, v24
	v_mov_b32_e32 v31, v3
	v_cmp_gt_u64_e32 vcc, s[58:59], v[30:31]
	v_and_b32_sdwa v0, v24, s48 dst_sel:DWORD dst_unused:UNUSED_PAD src0_sel:BYTE_3 src1_sel:DWORD
                                        ; implicit-def: $vgpr21
	s_and_saveexec_b64 s[16:17], vcc
	s_xor_b64 s[74:75], exec, s[16:17]
	s_cbranch_execz .LBB2_631
; %bb.622:                              ;   in Loop: Header=BB2_444 Depth=2
	v_mov_b32_e32 v21, 0
	v_cmp_ne_u32_e32 vcc, 0, v24
	s_and_saveexec_b64 s[76:77], vcc
	s_cbranch_execz .LBB2_630
; %bb.623:                              ;   in Loop: Header=BB2_444 Depth=2
	v_bfe_u32 v21, v24, 23, 8
	v_cmp_gt_u32_e64 s[16:17], s49, v21
	v_sub_u32_e32 v24, 0x71, v21
	v_cmp_eq_u32_e32 vcc, 0, v21
	v_cndmask_b32_e64 v24, 0, v24, s[16:17]
	v_or_b32_e32 v25, 0x800000, v18
	v_cndmask_b32_e32 v24, v24, v40, vcc
	v_cndmask_b32_e32 v18, v25, v18, vcc
	v_add_u32_e32 v25, 21, v24
	v_lshlrev_b64 v[30:31], v25, -1
	v_add_u32_e32 v25, 20, v24
	v_bfi_b32 v30, v30, 0, v18
	v_lshlrev_b64 v[33:34], v25, 1
	v_lshrrev_b64 v[18:19], v24, v[18:19]
	v_bfi_b32 v31, v31, 0, 0
	v_cmp_eq_u64_e64 s[16:17], v[30:31], v[33:34]
	v_mov_b32_e32 v31, v19
	v_mov_b32_e32 v30, v18
	s_and_saveexec_b64 s[78:79], s[16:17]
; %bb.624:                              ;   in Loop: Header=BB2_444 Depth=2
	v_bfe_u32 v19, v18, 21, 1
	v_add_co_u32_e64 v19, s[16:17], v18, v19
	v_add_co_u32_e64 v30, s[16:17], -1, v19
; %bb.625:                              ;   in Loop: Header=BB2_444 Depth=2
	s_or_b64 exec, exec, s[78:79]
	v_add_u32_e32 v19, 0xffffff81, v21
	v_cndmask_b32_e32 v19, v19, v41, vcc
	v_lshrrev_b32_e32 v21, 23, v18
	v_add3_u32 v25, v24, v19, v21
	v_add_u32_e32 v24, 14, v25
	v_and_b32_e32 v19, 0x1fffff, v30
	v_add_u32_e32 v18, v19, v18
	v_mov_b32_e32 v19, v3
	v_cmp_ne_u32_e32 vcc, 0, v24
                                        ; implicit-def: $vgpr21
	s_and_saveexec_b64 s[16:17], vcc
	s_xor_b64 s[16:17], exec, s[16:17]
; %bb.626:                              ;   in Loop: Header=BB2_444 Depth=2
	v_cmp_lt_u64_e32 vcc, s[60:61], v[18:19]
	v_add_u32_e32 v21, 15, v25
	v_cndmask_b32_e32 v21, v24, v21, vcc
	v_cndmask_b32_e64 v24, 0, 1, vcc
	v_lshrrev_b64 v[18:19], v24, v[18:19]
; %bb.627:                              ;   in Loop: Header=BB2_444 Depth=2
	s_andn2_saveexec_b64 s[16:17], s[16:17]
; %bb.628:                              ;   in Loop: Header=BB2_444 Depth=2
	v_bfe_u32 v21, v18, 23, 1
; %bb.629:                              ;   in Loop: Header=BB2_444 Depth=2
	s_or_b64 exec, exec, s[16:17]
	v_lshrrev_b64 v[18:19], 21, v[18:19]
	v_cmp_gt_i32_e32 vcc, 32, v21
	v_cndmask_b32_e32 v19, 0, v19, vcc
	v_cndmask_b32_e32 v18, 3, v18, vcc
	v_cmp_eq_u64_e64 s[16:17], 0, v[18:19]
	v_min_i32_e32 v19, 31, v21
	v_lshlrev_b32_e32 v19, 2, v19
	v_cmp_eq_u32_e32 vcc, 0, v21
	v_and_b32_e32 v19, 0xfc, v19
	v_and_or_b32 v18, v18, 3, v19
	s_and_b64 s[16:17], vcc, s[16:17]
	v_cndmask_b32_e64 v18, v18, 0, s[16:17]
	v_or_b32_e32 v21, v18, v0
.LBB2_630:                              ;   in Loop: Header=BB2_444 Depth=2
	s_or_b64 exec, exec, s[76:77]
                                        ; implicit-def: $vgpr0
.LBB2_631:                              ;   in Loop: Header=BB2_444 Depth=2
	s_andn2_saveexec_b64 s[16:17], s[74:75]
; %bb.632:                              ;   in Loop: Header=BB2_444 Depth=2
	v_or_b32_e32 v21, 0x7b, v0
; %bb.633:                              ;   in Loop: Header=BB2_444 Depth=2
	s_or_b64 exec, exec, s[16:17]
                                        ; implicit-def: $vgpr24
                                        ; implicit-def: $vgpr18_vgpr19
.LBB2_634:                              ;   in Loop: Header=BB2_444 Depth=2
	s_andn2_saveexec_b64 s[16:17], s[72:73]
	s_cbranch_execz .LBB2_640
; %bb.635:                              ;   in Loop: Header=BB2_444 Depth=2
	v_cmp_ne_u64_e32 vcc, 0, v[18:19]
                                        ; implicit-def: $vgpr21
	s_and_saveexec_b64 s[72:73], vcc
	s_xor_b64 s[72:73], exec, s[72:73]
; %bb.636:                              ;   in Loop: Header=BB2_444 Depth=2
	v_or_b32_sdwa v21, v24, s50 dst_sel:DWORD dst_unused:UNUSED_PAD src0_sel:BYTE_3 src1_sel:DWORD
                                        ; implicit-def: $vgpr24
; %bb.637:                              ;   in Loop: Header=BB2_444 Depth=2
	s_andn2_saveexec_b64 s[72:73], s[72:73]
; %bb.638:                              ;   in Loop: Header=BB2_444 Depth=2
	v_cmp_lt_i32_e32 vcc, -1, v24
	v_cndmask_b32_e32 v21, v12, v50, vcc
; %bb.639:                              ;   in Loop: Header=BB2_444 Depth=2
	s_or_b64 exec, exec, s[72:73]
.LBB2_640:                              ;   in Loop: Header=BB2_444 Depth=2
	s_or_b64 exec, exec, s[16:17]
	v_lshrrev_b16_e32 v18, 8, v20
	v_cmp_ne_u16_e32 vcc, 0, v18
	v_mov_b32_e32 v0, 0
	v_mov_b32_e32 v24, 0
	s_and_saveexec_b64 s[16:17], vcc
	s_cbranch_execz .LBB2_648
; %bb.641:                              ;   in Loop: Header=BB2_444 Depth=2
	v_cmp_ne_u16_e32 vcc, s48, v18
	v_bfrev_b32_e32 v24, 1
	s_and_saveexec_b64 s[72:73], vcc
	s_cbranch_execz .LBB2_647
; %bb.642:                              ;   in Loop: Header=BB2_444 Depth=2
	v_and_b32_e32 v19, 0x7c, v18
	v_and_b32_e32 v25, 3, v18
	v_cmp_ne_u32_e32 vcc, s39, v19
                                        ; implicit-def: $vgpr24
	s_and_saveexec_b64 s[74:75], vcc
	s_xor_b64 s[74:75], exec, s[74:75]
	s_cbranch_execz .LBB2_644
; %bb.643:                              ;   in Loop: Header=BB2_444 Depth=2
	v_ffbh_u32_e32 v30, v25
	v_min_u32_e32 v30, 32, v30
	v_mov_b32_e32 v19, v3
	v_subrev_u32_e32 v31, 29, v30
	v_bfe_u32 v24, v18, 2, 5
	v_lshlrev_b64 v[18:19], v31, v[18:19]
	v_sub_u32_e32 v19, 30, v30
	v_cmp_eq_u32_e32 vcc, 0, v24
	v_cndmask_b32_e32 v19, v24, v19, vcc
	v_lshlrev_b32_e32 v24, 16, v20
	v_and_b32_e32 v18, 3, v18
	v_and_b32_e32 v24, 0x80000000, v24
	v_cndmask_b32_e32 v18, v25, v18, vcc
	v_lshl_add_u32 v19, v19, 23, v24
	v_lshl_or_b32 v18, v18, 21, v19
	v_add_u32_e32 v24, 0x38000000, v18
                                        ; implicit-def: $vgpr25
.LBB2_644:                              ;   in Loop: Header=BB2_444 Depth=2
	s_andn2_saveexec_b64 s[74:75], s[74:75]
; %bb.645:                              ;   in Loop: Header=BB2_444 Depth=2
	v_cmp_lt_i16_e32 vcc, -1, v20
	v_cndmask_b32_e32 v18, v5, v8, vcc
	v_cmp_eq_u32_e32 vcc, 0, v25
	v_cndmask_b32_e32 v24, v9, v18, vcc
; %bb.646:                              ;   in Loop: Header=BB2_444 Depth=2
	s_or_b64 exec, exec, s[74:75]
.LBB2_647:                              ;   in Loop: Header=BB2_444 Depth=2
	s_or_b64 exec, exec, s[72:73]
.LBB2_648:                              ;   in Loop: Header=BB2_444 Depth=2
	s_or_b64 exec, exec, s[16:17]
	v_lshrrev_b16_e32 v18, 8, v2
	v_cmp_ne_u16_e32 vcc, 0, v18
	s_and_saveexec_b64 s[16:17], vcc
	s_cbranch_execz .LBB2_656
; %bb.649:                              ;   in Loop: Header=BB2_444 Depth=2
	v_cmp_ne_u16_e32 vcc, s48, v18
	v_bfrev_b32_e32 v0, 1
	s_and_saveexec_b64 s[72:73], vcc
	s_cbranch_execz .LBB2_655
; %bb.650:                              ;   in Loop: Header=BB2_444 Depth=2
	v_and_b32_e32 v0, 0x7c, v18
	v_and_b32_e32 v25, 3, v18
	v_cmp_ne_u32_e32 vcc, s39, v0
                                        ; implicit-def: $vgpr0
	s_and_saveexec_b64 s[74:75], vcc
	s_xor_b64 s[74:75], exec, s[74:75]
	s_cbranch_execz .LBB2_652
; %bb.651:                              ;   in Loop: Header=BB2_444 Depth=2
	v_ffbh_u32_e32 v30, v25
	v_min_u32_e32 v30, 32, v30
	v_mov_b32_e32 v19, v3
	v_subrev_u32_e32 v31, 29, v30
	v_bfe_u32 v0, v18, 2, 5
	v_lshlrev_b64 v[18:19], v31, v[18:19]
	v_sub_u32_e32 v19, 30, v30
	v_cmp_eq_u32_e32 vcc, 0, v0
	v_cndmask_b32_e32 v0, v0, v19, vcc
	v_lshlrev_b32_e32 v19, 16, v2
	v_and_b32_e32 v18, 3, v18
	v_and_b32_e32 v19, 0x80000000, v19
	v_cndmask_b32_e32 v18, v25, v18, vcc
	v_lshl_add_u32 v0, v0, 23, v19
	v_lshl_or_b32 v0, v18, 21, v0
	v_add_u32_e32 v0, 0x38000000, v0
                                        ; implicit-def: $vgpr25
.LBB2_652:                              ;   in Loop: Header=BB2_444 Depth=2
	s_andn2_saveexec_b64 s[74:75], s[74:75]
; %bb.653:                              ;   in Loop: Header=BB2_444 Depth=2
	v_cmp_lt_i16_e32 vcc, -1, v2
	v_cndmask_b32_e32 v0, v5, v8, vcc
	v_cmp_eq_u32_e32 vcc, 0, v25
	v_cndmask_b32_e32 v0, v9, v0, vcc
; %bb.654:                              ;   in Loop: Header=BB2_444 Depth=2
	s_or_b64 exec, exec, s[74:75]
.LBB2_655:                              ;   in Loop: Header=BB2_444 Depth=2
	s_or_b64 exec, exec, s[72:73]
.LBB2_656:                              ;   in Loop: Header=BB2_444 Depth=2
	s_or_b64 exec, exec, s[16:17]
	v_mul_f32_e32 v25, v24, v0
	v_and_b32_e32 v30, 0x7f800000, v25
	v_mov_b32_e32 v31, v3
	v_cmp_ne_u64_e32 vcc, s[56:57], v[30:31]
	v_and_b32_e32 v18, 0x7fffff, v25
	v_mov_b32_e32 v19, v3
                                        ; implicit-def: $vgpr24
	s_and_saveexec_b64 s[16:17], vcc
	s_xor_b64 s[72:73], exec, s[16:17]
	s_cbranch_execz .LBB2_670
; %bb.657:                              ;   in Loop: Header=BB2_444 Depth=2
	v_and_b32_e32 v30, 0x7fffffff, v25
	v_mov_b32_e32 v31, v3
	v_cmp_gt_u64_e32 vcc, s[58:59], v[30:31]
	v_and_b32_sdwa v0, v25, s48 dst_sel:DWORD dst_unused:UNUSED_PAD src0_sel:BYTE_3 src1_sel:DWORD
                                        ; implicit-def: $vgpr24
	s_and_saveexec_b64 s[16:17], vcc
	s_xor_b64 s[74:75], exec, s[16:17]
	s_cbranch_execz .LBB2_667
; %bb.658:                              ;   in Loop: Header=BB2_444 Depth=2
	v_mov_b32_e32 v24, 0
	v_cmp_ne_u32_e32 vcc, 0, v25
	s_and_saveexec_b64 s[76:77], vcc
	s_cbranch_execz .LBB2_666
; %bb.659:                              ;   in Loop: Header=BB2_444 Depth=2
	v_bfe_u32 v24, v25, 23, 8
	v_cmp_gt_u32_e64 s[16:17], s49, v24
	v_sub_u32_e32 v25, 0x71, v24
	v_cmp_eq_u32_e32 vcc, 0, v24
	v_cndmask_b32_e64 v25, 0, v25, s[16:17]
	v_or_b32_e32 v30, 0x800000, v18
	v_cndmask_b32_e32 v25, v25, v40, vcc
	v_cndmask_b32_e32 v18, v30, v18, vcc
	v_add_u32_e32 v30, 21, v25
	v_lshlrev_b64 v[30:31], v30, -1
	v_add_u32_e32 v33, 20, v25
	v_bfi_b32 v30, v30, 0, v18
	v_lshlrev_b64 v[33:34], v33, 1
	v_lshrrev_b64 v[18:19], v25, v[18:19]
	v_bfi_b32 v31, v31, 0, 0
	v_cmp_eq_u64_e64 s[16:17], v[30:31], v[33:34]
	v_mov_b32_e32 v31, v19
	v_mov_b32_e32 v30, v18
	s_and_saveexec_b64 s[78:79], s[16:17]
; %bb.660:                              ;   in Loop: Header=BB2_444 Depth=2
	v_bfe_u32 v19, v18, 21, 1
	v_add_co_u32_e64 v19, s[16:17], v18, v19
	v_add_co_u32_e64 v30, s[16:17], -1, v19
; %bb.661:                              ;   in Loop: Header=BB2_444 Depth=2
	s_or_b64 exec, exec, s[78:79]
	v_add_u32_e32 v19, 0xffffff81, v24
	v_cndmask_b32_e32 v19, v19, v41, vcc
	v_lshrrev_b32_e32 v24, 23, v18
	v_add3_u32 v31, v25, v19, v24
	v_add_u32_e32 v25, 14, v31
	v_and_b32_e32 v19, 0x1fffff, v30
	v_add_u32_e32 v18, v19, v18
	v_mov_b32_e32 v19, v3
	v_cmp_ne_u32_e32 vcc, 0, v25
                                        ; implicit-def: $vgpr24
	s_and_saveexec_b64 s[16:17], vcc
	s_xor_b64 s[16:17], exec, s[16:17]
; %bb.662:                              ;   in Loop: Header=BB2_444 Depth=2
	v_cmp_lt_u64_e32 vcc, s[60:61], v[18:19]
	v_add_u32_e32 v24, 15, v31
	v_cndmask_b32_e32 v24, v25, v24, vcc
	v_cndmask_b32_e64 v25, 0, 1, vcc
	v_lshrrev_b64 v[18:19], v25, v[18:19]
; %bb.663:                              ;   in Loop: Header=BB2_444 Depth=2
	s_andn2_saveexec_b64 s[16:17], s[16:17]
; %bb.664:                              ;   in Loop: Header=BB2_444 Depth=2
	v_bfe_u32 v24, v18, 23, 1
; %bb.665:                              ;   in Loop: Header=BB2_444 Depth=2
	s_or_b64 exec, exec, s[16:17]
	v_lshrrev_b64 v[18:19], 21, v[18:19]
	v_cmp_gt_i32_e32 vcc, 32, v24
	v_cndmask_b32_e32 v19, 0, v19, vcc
	v_cndmask_b32_e32 v18, 3, v18, vcc
	v_cmp_eq_u64_e64 s[16:17], 0, v[18:19]
	v_min_i32_e32 v19, 31, v24
	v_lshlrev_b32_e32 v19, 2, v19
	v_cmp_eq_u32_e32 vcc, 0, v24
	v_and_b32_e32 v19, 0xfc, v19
	v_and_or_b32 v18, v18, 3, v19
	s_and_b64 s[16:17], vcc, s[16:17]
	v_cndmask_b32_e64 v18, v18, 0, s[16:17]
	v_or_b32_e32 v24, v18, v0
.LBB2_666:                              ;   in Loop: Header=BB2_444 Depth=2
	s_or_b64 exec, exec, s[76:77]
                                        ; implicit-def: $vgpr0
.LBB2_667:                              ;   in Loop: Header=BB2_444 Depth=2
	s_andn2_saveexec_b64 s[16:17], s[74:75]
; %bb.668:                              ;   in Loop: Header=BB2_444 Depth=2
	v_or_b32_e32 v24, 0x7b, v0
; %bb.669:                              ;   in Loop: Header=BB2_444 Depth=2
	s_or_b64 exec, exec, s[16:17]
                                        ; implicit-def: $vgpr25
                                        ; implicit-def: $vgpr18_vgpr19
.LBB2_670:                              ;   in Loop: Header=BB2_444 Depth=2
	s_andn2_saveexec_b64 s[16:17], s[72:73]
	s_cbranch_execz .LBB2_676
; %bb.671:                              ;   in Loop: Header=BB2_444 Depth=2
	v_cmp_ne_u64_e32 vcc, 0, v[18:19]
                                        ; implicit-def: $vgpr24
	s_and_saveexec_b64 s[72:73], vcc
	s_xor_b64 s[72:73], exec, s[72:73]
; %bb.672:                              ;   in Loop: Header=BB2_444 Depth=2
	v_or_b32_sdwa v24, v25, s50 dst_sel:DWORD dst_unused:UNUSED_PAD src0_sel:BYTE_3 src1_sel:DWORD
                                        ; implicit-def: $vgpr25
; %bb.673:                              ;   in Loop: Header=BB2_444 Depth=2
	s_andn2_saveexec_b64 s[72:73], s[72:73]
; %bb.674:                              ;   in Loop: Header=BB2_444 Depth=2
	v_cmp_lt_i32_e32 vcc, -1, v25
	v_cndmask_b32_e32 v24, v12, v50, vcc
; %bb.675:                              ;   in Loop: Header=BB2_444 Depth=2
	s_or_b64 exec, exec, s[72:73]
.LBB2_676:                              ;   in Loop: Header=BB2_444 Depth=2
	s_or_b64 exec, exec, s[16:17]
	v_lshrrev_b32_e32 v0, 16, v20
	v_cmp_ne_u16_sdwa s[72:73], v0, v3 src0_sel:BYTE_0 src1_sel:DWORD
	v_mov_b32_e32 v18, 0
	v_mov_b32_e32 v19, 0
	s_and_saveexec_b64 s[16:17], s[72:73]
	s_cbranch_execz .LBB2_684
; %bb.677:                              ;   in Loop: Header=BB2_444 Depth=2
	v_cmp_ne_u16_sdwa s[74:75], v0, s48 src0_sel:BYTE_0 src1_sel:DWORD
	v_bfrev_b32_e32 v19, 1
	s_and_saveexec_b64 s[72:73], s[74:75]
	s_cbranch_execz .LBB2_683
; %bb.678:                              ;   in Loop: Header=BB2_444 Depth=2
	v_and_b32_e32 v19, 0x7c0000, v20
	v_bfe_u32 v25, v20, 16, 2
	v_cmp_ne_u32_e32 vcc, s51, v19
                                        ; implicit-def: $vgpr19
	s_and_saveexec_b64 s[74:75], vcc
	s_xor_b64 s[74:75], exec, s[74:75]
	s_cbranch_execz .LBB2_680
; %bb.679:                              ;   in Loop: Header=BB2_444 Depth=2
	v_ffbh_u32_e32 v30, v25
	v_min_u32_e32 v33, 32, v30
	v_subrev_u32_e32 v30, 29, v33
	v_lshlrev_b64 v[30:31], v30, v[0:1]
	v_bfe_u32 v19, v20, 18, 5
	v_sub_u32_e32 v0, 30, v33
	v_and_b32_e32 v30, 3, v30
	v_cmp_eq_u32_e32 vcc, 0, v19
	v_cndmask_b32_e32 v0, v19, v0, vcc
	v_cndmask_b32_e32 v19, v25, v30, vcc
	v_lshlrev_b32_e32 v25, 8, v20
	v_and_b32_e32 v25, 0x80000000, v25
	v_lshl_add_u32 v0, v0, 23, v25
	v_lshl_or_b32 v0, v19, 21, v0
	v_add_u32_e32 v19, 0x38000000, v0
                                        ; implicit-def: $vgpr25
                                        ; implicit-def: $vgpr0
.LBB2_680:                              ;   in Loop: Header=BB2_444 Depth=2
	s_andn2_saveexec_b64 s[74:75], s[74:75]
; %bb.681:                              ;   in Loop: Header=BB2_444 Depth=2
	v_cmp_gt_i16_sdwa vcc, sext(v0), v27 src0_sel:BYTE_0 src1_sel:DWORD
	v_cndmask_b32_e32 v0, v5, v8, vcc
	v_cmp_eq_u32_e32 vcc, 0, v25
	v_cndmask_b32_e32 v19, v9, v0, vcc
; %bb.682:                              ;   in Loop: Header=BB2_444 Depth=2
	s_or_b64 exec, exec, s[74:75]
.LBB2_683:                              ;   in Loop: Header=BB2_444 Depth=2
	s_or_b64 exec, exec, s[72:73]
.LBB2_684:                              ;   in Loop: Header=BB2_444 Depth=2
	s_or_b64 exec, exec, s[16:17]
	v_and_b32_sdwa v25, v2, s37 dst_sel:DWORD dst_unused:UNUSED_PAD src0_sel:WORD_1 src1_sel:DWORD
	v_lshrrev_b32_e32 v0, 16, v2
	v_cmp_ne_u16_e32 vcc, 0, v25
	s_and_saveexec_b64 s[16:17], vcc
	s_cbranch_execz .LBB2_692
; %bb.685:                              ;   in Loop: Header=BB2_444 Depth=2
	v_cmp_ne_u16_e32 vcc, s48, v25
	v_bfrev_b32_e32 v18, 1
	s_and_saveexec_b64 s[72:73], vcc
	s_cbranch_execz .LBB2_691
; %bb.686:                              ;   in Loop: Header=BB2_444 Depth=2
	v_and_b32_e32 v18, 0x7c0000, v2
	v_bfe_u32 v25, v2, 16, 2
	v_cmp_ne_u32_e32 vcc, s51, v18
                                        ; implicit-def: $vgpr18
	s_and_saveexec_b64 s[74:75], vcc
	s_xor_b64 s[74:75], exec, s[74:75]
	s_cbranch_execz .LBB2_688
; %bb.687:                              ;   in Loop: Header=BB2_444 Depth=2
	v_ffbh_u32_e32 v30, v25
	v_min_u32_e32 v33, 32, v30
	v_subrev_u32_e32 v30, 29, v33
	v_lshlrev_b64 v[30:31], v30, v[0:1]
	v_bfe_u32 v18, v2, 18, 5
	v_sub_u32_e32 v0, 30, v33
	v_and_b32_e32 v30, 3, v30
	v_cmp_eq_u32_e32 vcc, 0, v18
	v_cndmask_b32_e32 v0, v18, v0, vcc
	v_cndmask_b32_e32 v18, v25, v30, vcc
	v_lshlrev_b32_e32 v25, 8, v2
	v_and_b32_e32 v25, 0x80000000, v25
	v_lshl_add_u32 v0, v0, 23, v25
	v_lshl_or_b32 v0, v18, 21, v0
	v_add_u32_e32 v18, 0x38000000, v0
                                        ; implicit-def: $vgpr25
                                        ; implicit-def: $vgpr0
.LBB2_688:                              ;   in Loop: Header=BB2_444 Depth=2
	s_andn2_saveexec_b64 s[74:75], s[74:75]
; %bb.689:                              ;   in Loop: Header=BB2_444 Depth=2
	v_cmp_gt_i16_sdwa vcc, sext(v0), v27 src0_sel:BYTE_0 src1_sel:DWORD
	v_cndmask_b32_e32 v0, v5, v8, vcc
	v_cmp_eq_u32_e32 vcc, 0, v25
	v_cndmask_b32_e32 v18, v9, v0, vcc
; %bb.690:                              ;   in Loop: Header=BB2_444 Depth=2
	s_or_b64 exec, exec, s[74:75]
.LBB2_691:                              ;   in Loop: Header=BB2_444 Depth=2
	s_or_b64 exec, exec, s[72:73]
.LBB2_692:                              ;   in Loop: Header=BB2_444 Depth=2
	s_or_b64 exec, exec, s[16:17]
	v_mul_f32_e32 v30, v19, v18
	v_and_b32_e32 v33, 0x7f800000, v30
	v_mov_b32_e32 v34, v3
	v_cmp_ne_u64_e32 vcc, s[56:57], v[33:34]
	v_and_b32_e32 v18, 0x7fffff, v30
	v_mov_b32_e32 v19, v3
                                        ; implicit-def: $vgpr25
	s_and_saveexec_b64 s[16:17], vcc
	s_xor_b64 s[72:73], exec, s[16:17]
	s_cbranch_execz .LBB2_706
; %bb.693:                              ;   in Loop: Header=BB2_444 Depth=2
	v_and_b32_e32 v33, 0x7fffffff, v30
	v_mov_b32_e32 v34, v3
	v_cmp_gt_u64_e32 vcc, s[58:59], v[33:34]
	v_and_b32_sdwa v0, v30, s48 dst_sel:DWORD dst_unused:UNUSED_PAD src0_sel:BYTE_3 src1_sel:DWORD
                                        ; implicit-def: $vgpr25
	s_and_saveexec_b64 s[16:17], vcc
	s_xor_b64 s[74:75], exec, s[16:17]
	s_cbranch_execz .LBB2_703
; %bb.694:                              ;   in Loop: Header=BB2_444 Depth=2
	v_mov_b32_e32 v25, 0
	v_cmp_ne_u32_e32 vcc, 0, v30
	s_and_saveexec_b64 s[76:77], vcc
	s_cbranch_execz .LBB2_702
; %bb.695:                              ;   in Loop: Header=BB2_444 Depth=2
	v_bfe_u32 v25, v30, 23, 8
	v_cmp_gt_u32_e64 s[16:17], s49, v25
	v_sub_u32_e32 v30, 0x71, v25
	v_cmp_eq_u32_e32 vcc, 0, v25
	v_cndmask_b32_e64 v30, 0, v30, s[16:17]
	v_cndmask_b32_e32 v33, v30, v40, vcc
	v_or_b32_e32 v31, 0x800000, v18
	v_add_u32_e32 v30, 21, v33
	v_cndmask_b32_e32 v18, v31, v18, vcc
	v_lshlrev_b64 v[30:31], v30, -1
	v_add_u32_e32 v34, 20, v33
	v_bfi_b32 v30, v30, 0, v18
	v_lshlrev_b64 v[34:35], v34, 1
	v_lshrrev_b64 v[18:19], v33, v[18:19]
	v_bfi_b32 v31, v31, 0, 0
	v_cmp_eq_u64_e64 s[16:17], v[30:31], v[34:35]
	v_mov_b32_e32 v31, v19
	v_mov_b32_e32 v30, v18
	s_and_saveexec_b64 s[78:79], s[16:17]
; %bb.696:                              ;   in Loop: Header=BB2_444 Depth=2
	v_bfe_u32 v19, v18, 21, 1
	v_add_co_u32_e64 v19, s[16:17], v18, v19
	v_add_co_u32_e64 v30, s[16:17], -1, v19
; %bb.697:                              ;   in Loop: Header=BB2_444 Depth=2
	s_or_b64 exec, exec, s[78:79]
	v_add_u32_e32 v19, 0xffffff81, v25
	v_cndmask_b32_e32 v19, v19, v41, vcc
	v_lshrrev_b32_e32 v25, 23, v18
	v_add3_u32 v33, v33, v19, v25
	v_add_u32_e32 v31, 14, v33
	v_and_b32_e32 v19, 0x1fffff, v30
	v_add_u32_e32 v18, v19, v18
	v_mov_b32_e32 v19, v3
	v_cmp_ne_u32_e32 vcc, 0, v31
                                        ; implicit-def: $vgpr25
	s_and_saveexec_b64 s[16:17], vcc
	s_xor_b64 s[16:17], exec, s[16:17]
; %bb.698:                              ;   in Loop: Header=BB2_444 Depth=2
	v_cmp_lt_u64_e32 vcc, s[60:61], v[18:19]
	v_add_u32_e32 v25, 15, v33
	v_cndmask_b32_e64 v30, 0, 1, vcc
	v_cndmask_b32_e32 v25, v31, v25, vcc
	v_lshrrev_b64 v[18:19], v30, v[18:19]
; %bb.699:                              ;   in Loop: Header=BB2_444 Depth=2
	s_andn2_saveexec_b64 s[16:17], s[16:17]
; %bb.700:                              ;   in Loop: Header=BB2_444 Depth=2
	v_bfe_u32 v25, v18, 23, 1
; %bb.701:                              ;   in Loop: Header=BB2_444 Depth=2
	s_or_b64 exec, exec, s[16:17]
	v_lshrrev_b64 v[18:19], 21, v[18:19]
	v_cmp_gt_i32_e32 vcc, 32, v25
	v_cndmask_b32_e32 v19, 0, v19, vcc
	v_cndmask_b32_e32 v18, 3, v18, vcc
	v_cmp_eq_u64_e64 s[16:17], 0, v[18:19]
	v_min_i32_e32 v19, 31, v25
	v_lshlrev_b32_e32 v19, 2, v19
	v_cmp_eq_u32_e32 vcc, 0, v25
	v_and_b32_e32 v19, 0xfc, v19
	v_and_or_b32 v18, v18, 3, v19
	s_and_b64 s[16:17], vcc, s[16:17]
	v_cndmask_b32_e64 v18, v18, 0, s[16:17]
	v_or_b32_e32 v25, v18, v0
.LBB2_702:                              ;   in Loop: Header=BB2_444 Depth=2
	s_or_b64 exec, exec, s[76:77]
                                        ; implicit-def: $vgpr0
.LBB2_703:                              ;   in Loop: Header=BB2_444 Depth=2
	s_andn2_saveexec_b64 s[16:17], s[74:75]
; %bb.704:                              ;   in Loop: Header=BB2_444 Depth=2
	v_or_b32_e32 v25, 0x7b, v0
; %bb.705:                              ;   in Loop: Header=BB2_444 Depth=2
	s_or_b64 exec, exec, s[16:17]
                                        ; implicit-def: $vgpr30
                                        ; implicit-def: $vgpr18_vgpr19
.LBB2_706:                              ;   in Loop: Header=BB2_444 Depth=2
	s_andn2_saveexec_b64 s[16:17], s[72:73]
	s_cbranch_execz .LBB2_712
; %bb.707:                              ;   in Loop: Header=BB2_444 Depth=2
	v_cmp_ne_u64_e32 vcc, 0, v[18:19]
                                        ; implicit-def: $vgpr25
	s_and_saveexec_b64 s[72:73], vcc
	s_xor_b64 s[72:73], exec, s[72:73]
; %bb.708:                              ;   in Loop: Header=BB2_444 Depth=2
	v_or_b32_sdwa v25, v30, s50 dst_sel:DWORD dst_unused:UNUSED_PAD src0_sel:BYTE_3 src1_sel:DWORD
                                        ; implicit-def: $vgpr30
; %bb.709:                              ;   in Loop: Header=BB2_444 Depth=2
	s_andn2_saveexec_b64 s[72:73], s[72:73]
; %bb.710:                              ;   in Loop: Header=BB2_444 Depth=2
	v_cmp_lt_i32_e32 vcc, -1, v30
	v_cndmask_b32_e32 v25, v12, v50, vcc
; %bb.711:                              ;   in Loop: Header=BB2_444 Depth=2
	s_or_b64 exec, exec, s[72:73]
.LBB2_712:                              ;   in Loop: Header=BB2_444 Depth=2
	s_or_b64 exec, exec, s[16:17]
	v_mov_b32_e32 v19, v3
	v_cmp_lt_u64_e32 vcc, s[46:47], v[19:20]
	v_mov_b32_e32 v18, 0
	v_mov_b32_e32 v30, 0
	s_and_saveexec_b64 s[16:17], vcc
	s_cbranch_execz .LBB2_720
; %bb.713:                              ;   in Loop: Header=BB2_444 Depth=2
	v_lshrrev_b32_e32 v0, 24, v20
	v_cmp_ne_u32_e32 vcc, s48, v0
	v_bfrev_b32_e32 v30, 1
	s_and_saveexec_b64 s[72:73], vcc
	s_cbranch_execz .LBB2_719
; %bb.714:                              ;   in Loop: Header=BB2_444 Depth=2
	v_and_b32_e32 v30, 0x7c000000, v20
	v_bfe_u32 v31, v20, 24, 2
	v_cmp_ne_u32_e32 vcc, s52, v30
                                        ; implicit-def: $vgpr30
	s_and_saveexec_b64 s[74:75], vcc
	s_xor_b64 s[74:75], exec, s[74:75]
	s_cbranch_execz .LBB2_716
; %bb.715:                              ;   in Loop: Header=BB2_444 Depth=2
	v_ffbh_u32_e32 v30, v31
	v_min_u32_e32 v30, 32, v30
	v_subrev_u32_e32 v33, 29, v30
	v_bfe_u32 v19, v20, 26, 5
	v_lshlrev_b64 v[33:34], v33, v[0:1]
	v_sub_u32_e32 v0, 30, v30
	v_cmp_eq_u32_e32 vcc, 0, v19
	v_and_b32_e32 v30, 3, v33
	v_cndmask_b32_e32 v0, v19, v0, vcc
	v_and_b32_e32 v20, 0x80000000, v20
	v_cndmask_b32_e32 v19, v31, v30, vcc
	v_lshl_add_u32 v0, v0, 23, v20
	v_lshl_or_b32 v0, v19, 21, v0
	v_add_u32_e32 v30, 0x38000000, v0
                                        ; implicit-def: $vgpr31
                                        ; implicit-def: $vgpr19_vgpr20
.LBB2_716:                              ;   in Loop: Header=BB2_444 Depth=2
	s_andn2_saveexec_b64 s[74:75], s[74:75]
; %bb.717:                              ;   in Loop: Header=BB2_444 Depth=2
	v_cmp_lt_i64_e32 vcc, -1, v[19:20]
	v_cndmask_b32_e32 v0, v5, v8, vcc
	v_cmp_eq_u32_e32 vcc, 0, v31
	v_cndmask_b32_e32 v30, v9, v0, vcc
; %bb.718:                              ;   in Loop: Header=BB2_444 Depth=2
	s_or_b64 exec, exec, s[74:75]
.LBB2_719:                              ;   in Loop: Header=BB2_444 Depth=2
	s_or_b64 exec, exec, s[72:73]
.LBB2_720:                              ;   in Loop: Header=BB2_444 Depth=2
	s_or_b64 exec, exec, s[16:17]
	v_cmp_lt_u32_e32 vcc, s47, v2
	s_and_saveexec_b64 s[16:17], vcc
	s_cbranch_execz .LBB2_728
; %bb.721:                              ;   in Loop: Header=BB2_444 Depth=2
	v_lshrrev_b32_e32 v0, 24, v2
	v_cmp_ne_u32_e32 vcc, s48, v0
	v_bfrev_b32_e32 v18, 1
	s_and_saveexec_b64 s[72:73], vcc
	s_cbranch_execz .LBB2_727
; %bb.722:                              ;   in Loop: Header=BB2_444 Depth=2
	v_and_b32_e32 v18, 0x7c000000, v2
	v_bfe_u32 v19, v2, 24, 2
	v_cmp_ne_u32_e32 vcc, s52, v18
                                        ; implicit-def: $vgpr18
	s_and_saveexec_b64 s[74:75], vcc
	s_xor_b64 s[74:75], exec, s[74:75]
	s_cbranch_execz .LBB2_724
; %bb.723:                              ;   in Loop: Header=BB2_444 Depth=2
	v_ffbh_u32_e32 v20, v19
	v_min_u32_e32 v20, 32, v20
	v_subrev_u32_e32 v31, 29, v20
	v_bfe_u32 v18, v2, 26, 5
	v_lshlrev_b64 v[33:34], v31, v[0:1]
	v_sub_u32_e32 v0, 30, v20
	v_cmp_eq_u32_e32 vcc, 0, v18
	v_and_b32_e32 v20, 3, v33
	v_cndmask_b32_e32 v0, v18, v0, vcc
	v_and_b32_e32 v2, 0x80000000, v2
	v_cndmask_b32_e32 v18, v19, v20, vcc
	v_lshl_add_u32 v0, v0, 23, v2
	v_lshl_or_b32 v0, v18, 21, v0
	v_add_u32_e32 v18, 0x38000000, v0
                                        ; implicit-def: $vgpr19
.LBB2_724:                              ;   in Loop: Header=BB2_444 Depth=2
	s_andn2_saveexec_b64 s[74:75], s[74:75]
; %bb.725:                              ;   in Loop: Header=BB2_444 Depth=2
	v_cmp_lt_i32_e32 vcc, -1, v2
	v_cndmask_b32_e32 v0, v5, v8, vcc
	v_cmp_eq_u32_e32 vcc, 0, v19
	v_cndmask_b32_e32 v18, v9, v0, vcc
; %bb.726:                              ;   in Loop: Header=BB2_444 Depth=2
	s_or_b64 exec, exec, s[74:75]
.LBB2_727:                              ;   in Loop: Header=BB2_444 Depth=2
	s_or_b64 exec, exec, s[72:73]
.LBB2_728:                              ;   in Loop: Header=BB2_444 Depth=2
	s_or_b64 exec, exec, s[16:17]
	v_mul_f32_e32 v18, v30, v18
	v_and_b32_e32 v19, 0x7f800000, v18
	v_mov_b32_e32 v20, v3
	v_cmp_ne_u64_e32 vcc, s[56:57], v[19:20]
	v_and_b32_e32 v2, 0x7fffff, v18
                                        ; implicit-def: $vgpr19
	s_and_saveexec_b64 s[16:17], vcc
	s_xor_b64 s[72:73], exec, s[16:17]
	s_cbranch_execz .LBB2_742
; %bb.729:                              ;   in Loop: Header=BB2_444 Depth=2
	v_and_b32_e32 v19, 0x7fffffff, v18
	v_mov_b32_e32 v20, v3
	v_cmp_gt_u64_e32 vcc, s[58:59], v[19:20]
	v_and_b32_sdwa v0, v18, s48 dst_sel:DWORD dst_unused:UNUSED_PAD src0_sel:BYTE_3 src1_sel:DWORD
                                        ; implicit-def: $vgpr19
	s_and_saveexec_b64 s[16:17], vcc
	s_xor_b64 s[74:75], exec, s[16:17]
	s_cbranch_execz .LBB2_739
; %bb.730:                              ;   in Loop: Header=BB2_444 Depth=2
	v_mov_b32_e32 v19, 0
	v_cmp_ne_u32_e32 vcc, 0, v18
	s_and_saveexec_b64 s[76:77], vcc
	s_cbranch_execz .LBB2_738
; %bb.731:                              ;   in Loop: Header=BB2_444 Depth=2
	v_bfe_u32 v30, v18, 23, 8
	v_cmp_gt_u32_e64 s[16:17], s49, v30
	v_sub_u32_e32 v18, 0x71, v30
	v_cmp_eq_u32_e32 vcc, 0, v30
	v_cndmask_b32_e64 v18, 0, v18, s[16:17]
	v_cndmask_b32_e32 v31, v18, v40, vcc
	v_or_b32_e32 v19, 0x800000, v2
	v_add_u32_e32 v18, 21, v31
	v_cndmask_b32_e32 v2, v19, v2, vcc
	v_lshlrev_b64 v[18:19], v18, -1
	v_add_u32_e32 v20, 20, v31
	v_lshlrev_b64 v[33:34], v20, 1
	v_bfi_b32 v19, v19, 0, 0
	v_bfi_b32 v18, v18, 0, v2
	v_cmp_eq_u64_e64 s[16:17], v[18:19], v[33:34]
	v_lshrrev_b64 v[18:19], v31, v[2:3]
	v_mov_b32_e32 v20, v19
	v_mov_b32_e32 v19, v18
	s_and_saveexec_b64 s[78:79], s[16:17]
; %bb.732:                              ;   in Loop: Header=BB2_444 Depth=2
	v_bfe_u32 v2, v18, 21, 1
	v_add_co_u32_e64 v2, s[16:17], v18, v2
	v_add_co_u32_e64 v19, s[16:17], -1, v2
; %bb.733:                              ;   in Loop: Header=BB2_444 Depth=2
	s_or_b64 exec, exec, s[78:79]
	v_add_u32_e32 v2, 0xffffff81, v30
	v_cndmask_b32_e32 v2, v2, v41, vcc
	v_lshrrev_b32_e32 v20, 23, v18
	v_add3_u32 v31, v31, v2, v20
	v_add_u32_e32 v30, 14, v31
	v_and_b32_e32 v2, 0x1fffff, v19
	v_add_u32_e32 v2, v2, v18
	v_cmp_ne_u32_e32 vcc, 0, v30
                                        ; implicit-def: $vgpr18_vgpr19
                                        ; implicit-def: $vgpr20
	s_and_saveexec_b64 s[16:17], vcc
	s_xor_b64 s[16:17], exec, s[16:17]
; %bb.734:                              ;   in Loop: Header=BB2_444 Depth=2
	v_cmp_lt_u64_e32 vcc, s[60:61], v[2:3]
	v_add_u32_e32 v18, 15, v31
	v_cndmask_b32_e32 v20, v30, v18, vcc
	v_cndmask_b32_e64 v18, 0, 1, vcc
	v_lshrrev_b64 v[18:19], v18, v[2:3]
; %bb.735:                              ;   in Loop: Header=BB2_444 Depth=2
	s_andn2_saveexec_b64 s[16:17], s[16:17]
; %bb.736:                              ;   in Loop: Header=BB2_444 Depth=2
	v_mov_b32_e32 v19, v3
	v_bfe_u32 v20, v2, 23, 1
	v_mov_b32_e32 v18, v2
; %bb.737:                              ;   in Loop: Header=BB2_444 Depth=2
	s_or_b64 exec, exec, s[16:17]
	v_lshrrev_b64 v[18:19], 21, v[18:19]
	v_cmp_gt_i32_e32 vcc, 32, v20
	v_cndmask_b32_e32 v19, 0, v19, vcc
	v_cndmask_b32_e32 v18, 3, v18, vcc
	v_min_i32_e32 v2, 31, v20
	v_cmp_eq_u64_e64 s[16:17], 0, v[18:19]
	v_lshlrev_b32_e32 v2, 2, v2
	v_cmp_eq_u32_e32 vcc, 0, v20
	v_and_b32_e32 v2, 0xfc, v2
	v_and_or_b32 v2, v18, 3, v2
	s_and_b64 s[16:17], vcc, s[16:17]
	v_cndmask_b32_e64 v2, v2, 0, s[16:17]
	v_or_b32_e32 v19, v2, v0
.LBB2_738:                              ;   in Loop: Header=BB2_444 Depth=2
	s_or_b64 exec, exec, s[76:77]
                                        ; implicit-def: $vgpr0
.LBB2_739:                              ;   in Loop: Header=BB2_444 Depth=2
	s_andn2_saveexec_b64 s[16:17], s[74:75]
; %bb.740:                              ;   in Loop: Header=BB2_444 Depth=2
	v_or_b32_e32 v19, 0x7b, v0
; %bb.741:                              ;   in Loop: Header=BB2_444 Depth=2
	s_or_b64 exec, exec, s[16:17]
                                        ; implicit-def: $vgpr18
.LBB2_742:                              ;   in Loop: Header=BB2_444 Depth=2
	s_andn2_saveexec_b64 s[16:17], s[72:73]
	s_cbranch_execz .LBB2_748
; %bb.743:                              ;   in Loop: Header=BB2_444 Depth=2
	v_cmp_ne_u64_e32 vcc, 0, v[2:3]
                                        ; implicit-def: $vgpr19
	s_and_saveexec_b64 s[72:73], vcc
	s_xor_b64 s[72:73], exec, s[72:73]
; %bb.744:                              ;   in Loop: Header=BB2_444 Depth=2
	v_or_b32_sdwa v19, v18, s50 dst_sel:DWORD dst_unused:UNUSED_PAD src0_sel:BYTE_3 src1_sel:DWORD
                                        ; implicit-def: $vgpr18
; %bb.745:                              ;   in Loop: Header=BB2_444 Depth=2
	s_andn2_saveexec_b64 s[72:73], s[72:73]
; %bb.746:                              ;   in Loop: Header=BB2_444 Depth=2
	v_cmp_lt_i32_e32 vcc, -1, v18
	v_cndmask_b32_e32 v19, v12, v50, vcc
; %bb.747:                              ;   in Loop: Header=BB2_444 Depth=2
	s_or_b64 exec, exec, s[72:73]
.LBB2_748:                              ;   in Loop: Header=BB2_444 Depth=2
	s_or_b64 exec, exec, s[16:17]
	v_lshlrev_b32_e32 v0, 16, v32
	v_lshlrev_b32_e32 v2, 24, v4
	v_lshl_or_b32 v0, v6, 8, v0
	v_or3_b32 v18, v0, v2, v26
	v_lshlrev_b32_e32 v2, 16, v25
	v_lshlrev_b32_e32 v0, 24, v19
	v_lshl_or_b32 v2, v24, 8, v2
	v_cmp_lt_u32_e32 vcc, 7, v7
	v_or3_b32 v19, v2, v0, v21
	s_cmp_lg_u64 vcc, exec
	s_mov_b64 s[16:17], -1
	s_cbranch_scc0 .LBB2_758
; %bb.749:                              ;   in Loop: Header=BB2_444 Depth=2
	v_cmp_ne_u32_e64 s[16:17], 1, v7
	flat_store_byte v[56:57], v26
	s_and_saveexec_b64 s[72:73], s[16:17]
	s_cbranch_execnz .LBB2_760
; %bb.750:                              ;   in Loop: Header=BB2_444 Depth=2
	s_or_b64 exec, exec, s[72:73]
	v_cmp_lt_u32_e64 s[16:17], 2, v7
	s_and_saveexec_b64 s[72:73], s[16:17]
	s_cbranch_execnz .LBB2_761
.LBB2_751:                              ;   in Loop: Header=BB2_444 Depth=2
	s_or_b64 exec, exec, s[72:73]
	v_cmp_lt_u32_e64 s[16:17], 3, v7
	s_and_saveexec_b64 s[72:73], s[16:17]
	s_cbranch_execnz .LBB2_762
.LBB2_752:                              ;   in Loop: Header=BB2_444 Depth=2
	s_or_b64 exec, exec, s[72:73]
	v_cmp_lt_u32_e64 s[16:17], 4, v7
	s_and_saveexec_b64 s[72:73], s[16:17]
	s_cbranch_execnz .LBB2_763
.LBB2_753:                              ;   in Loop: Header=BB2_444 Depth=2
	s_or_b64 exec, exec, s[72:73]
	v_cmp_lt_u32_e64 s[16:17], 5, v7
	s_and_saveexec_b64 s[72:73], s[16:17]
	s_cbranch_execnz .LBB2_764
.LBB2_754:                              ;   in Loop: Header=BB2_444 Depth=2
	s_or_b64 exec, exec, s[72:73]
	v_cmp_lt_u32_e64 s[16:17], 6, v7
	s_and_saveexec_b64 s[72:73], s[16:17]
	s_cbranch_execnz .LBB2_765
.LBB2_755:                              ;   in Loop: Header=BB2_444 Depth=2
	s_or_b64 exec, exec, s[72:73]
	s_and_saveexec_b64 s[16:17], vcc
	s_cbranch_execz .LBB2_757
.LBB2_756:                              ;   in Loop: Header=BB2_444 Depth=2
	v_lshrrev_b32_e32 v0, 24, v19
	flat_store_byte v[56:57], v0 offset:7
.LBB2_757:                              ;   in Loop: Header=BB2_444 Depth=2
	s_or_b64 exec, exec, s[16:17]
	s_mov_b64 s[16:17], 0
.LBB2_758:                              ;   in Loop: Header=BB2_444 Depth=2
	s_and_b64 vcc, exec, s[16:17]
	s_cbranch_vccz .LBB2_443
; %bb.759:                              ;   in Loop: Header=BB2_444 Depth=2
	global_store_dwordx2 v[56:57], v[18:19], off
	s_branch .LBB2_443
.LBB2_760:                              ;   in Loop: Header=BB2_444 Depth=2
	v_lshrrev_b32_e32 v0, 8, v18
	flat_store_byte v[56:57], v0 offset:1
	s_or_b64 exec, exec, s[72:73]
	v_cmp_lt_u32_e64 s[16:17], 2, v7
	s_and_saveexec_b64 s[72:73], s[16:17]
	s_cbranch_execz .LBB2_751
.LBB2_761:                              ;   in Loop: Header=BB2_444 Depth=2
	flat_store_byte_d16_hi v[56:57], v18 offset:2
	s_or_b64 exec, exec, s[72:73]
	v_cmp_lt_u32_e64 s[16:17], 3, v7
	s_and_saveexec_b64 s[72:73], s[16:17]
	s_cbranch_execz .LBB2_752
.LBB2_762:                              ;   in Loop: Header=BB2_444 Depth=2
	v_lshrrev_b32_e32 v0, 24, v18
	flat_store_byte v[56:57], v0 offset:3
	s_or_b64 exec, exec, s[72:73]
	v_cmp_lt_u32_e64 s[16:17], 4, v7
	s_and_saveexec_b64 s[72:73], s[16:17]
	s_cbranch_execz .LBB2_753
.LBB2_763:                              ;   in Loop: Header=BB2_444 Depth=2
	flat_store_byte v[56:57], v21 offset:4
	s_or_b64 exec, exec, s[72:73]
	v_cmp_lt_u32_e64 s[16:17], 5, v7
	s_and_saveexec_b64 s[72:73], s[16:17]
	s_cbranch_execz .LBB2_754
.LBB2_764:                              ;   in Loop: Header=BB2_444 Depth=2
	v_lshrrev_b32_e32 v0, 8, v19
	flat_store_byte v[56:57], v0 offset:5
	s_or_b64 exec, exec, s[72:73]
	v_cmp_lt_u32_e64 s[16:17], 6, v7
	s_and_saveexec_b64 s[72:73], s[16:17]
	s_cbranch_execz .LBB2_755
.LBB2_765:                              ;   in Loop: Header=BB2_444 Depth=2
	flat_store_byte_d16_hi v[56:57], v19 offset:6
	s_or_b64 exec, exec, s[72:73]
	s_and_saveexec_b64 s[16:17], vcc
	s_cbranch_execnz .LBB2_756
	s_branch .LBB2_757
.LBB2_766:                              ;   in Loop: Header=BB2_24 Depth=1
	s_or_b64 exec, exec, s[62:63]
.LBB2_767:                              ;   in Loop: Header=BB2_24 Depth=1
	s_or_b64 exec, exec, s[18:19]
	buffer_load_dword v18, off, s[0:3], s32 offset:148 ; 4-byte Folded Reload
	buffer_load_dword v19, off, s[0:3], s32 offset:152 ; 4-byte Folded Reload
	;; [unrolled: 1-line block ×8, first 2 shown]
	s_waitcnt vmcnt(0)
	v_mov_b32_e32 v10, v20
	v_mov_b32_e32 v11, v21
	s_and_saveexec_b64 s[16:17], s[10:11]
	s_cbranch_execz .LBB2_786
; %bb.768:                              ;   in Loop: Header=BB2_24 Depth=1
	s_and_saveexec_b64 s[18:19], s[40:41]
	s_xor_b64 s[18:19], exec, s[18:19]
	s_cbranch_execz .LBB2_783
; %bb.769:                              ;   in Loop: Header=BB2_24 Depth=1
	s_and_saveexec_b64 s[62:63], s[12:13]
	s_cbranch_execz .LBB2_782
; %bb.770:                              ;   in Loop: Header=BB2_24 Depth=1
	s_mov_b64 s[74:75], exec
	s_waitcnt lgkmcnt(0)
	v_mbcnt_lo_u32_b32 v0, s74, 0
	v_mbcnt_hi_u32_b32 v0, s75, v0
	v_cmp_eq_u32_e32 vcc, 0, v0
	buffer_wbinvl1_vol
	s_and_saveexec_b64 s[72:73], vcc
	s_cbranch_execz .LBB2_772
; %bb.771:                              ;   in Loop: Header=BB2_24 Depth=1
	s_bcnt1_i32_b64 s26, s[74:75]
	v_mov_b32_e32 v2, s26
	ds_add_u64 v0, v[2:3]
	s_trap 2
.LBB2_772:                              ;   in Loop: Header=BB2_24 Depth=1
	s_or_b64 exec, exec, s[72:73]
	s_trap 2
	ds_read_b64 v[6:7], v0
	s_waitcnt lgkmcnt(0)
	buffer_load_dword v0, off, s[0:3], s32 offset:124 ; 4-byte Folded Reload
	s_waitcnt vmcnt(0)
	v_add_co_u32_e32 v42, vcc, v42, v0
	v_addc_co_u32_e32 v43, vcc, 0, v43, vcc
	v_cmp_lt_u64_e32 vcc, v[6:7], v[42:43]
	s_and_saveexec_b64 s[72:73], vcc
	s_cbranch_execz .LBB2_781
; %bb.773:                              ;   in Loop: Header=BB2_24 Depth=1
	s_mov_b32 s26, 0
	s_mov_b64 s[74:75], 0
                                        ; implicit-def: $sgpr76_sgpr77
                                        ; implicit-def: $sgpr78_sgpr79
	s_branch .LBB2_775
.LBB2_774:                              ;   in Loop: Header=BB2_775 Depth=2
	s_or_b64 exec, exec, s[90:91]
	s_and_b64 s[88:89], exec, s[92:93]
	s_or_b64 s[74:75], s[88:89], s[74:75]
	s_andn2_b64 s[76:77], s[76:77], exec
	s_and_b64 s[88:89], s[78:79], exec
	s_or_b64 s[76:77], s[76:77], s[88:89]
	s_andn2_b64 exec, exec, s[74:75]
	s_cbranch_execz .LBB2_779
.LBB2_775:                              ;   Parent Loop BB2_24 Depth=1
                                        ; =>  This Inner Loop Header: Depth=2
	s_add_i32 s26, s26, 1
	s_cmpk_lg_i32 s26, 0x2710
	s_cselect_b64 s[88:89], -1, 0
	s_and_b64 vcc, exec, s[88:89]
	s_cbranch_vccz .LBB2_777
; %bb.776:                              ;   in Loop: Header=BB2_775 Depth=2
	s_mov_b64 s[92:93], -1
	s_or_b64 s[78:79], s[78:79], exec
	s_and_saveexec_b64 s[90:91], s[88:89]
	s_cbranch_execz .LBB2_774
	s_branch .LBB2_778
.LBB2_777:                              ;   in Loop: Header=BB2_775 Depth=2
	s_trap 2
	ds_read_b64 v[6:7], v0
	s_andn2_b64 s[88:89], s[88:89], exec
	s_mov_b32 s26, 0
	s_waitcnt lgkmcnt(0)
	flat_load_dword v0, v[6:7] glc
	s_waitcnt vmcnt(0) lgkmcnt(0)
	buffer_wbinvl1_vol
	v_cmp_eq_u32_e32 vcc, 0, v0
	s_and_b64 s[90:91], vcc, exec
	s_or_b64 s[88:89], s[88:89], s[90:91]
	s_mov_b64 s[92:93], -1
	s_or_b64 s[78:79], s[78:79], exec
	s_and_saveexec_b64 s[90:91], s[88:89]
	s_cbranch_execz .LBB2_774
.LBB2_778:                              ;   in Loop: Header=BB2_775 Depth=2
	s_sleep 1
	s_trap 2
	ds_read_b64 v[6:7], v0
	s_waitcnt lgkmcnt(0)
	s_andn2_b64 s[78:79], s[78:79], exec
	v_cmp_ge_u64_e32 vcc, v[6:7], v[42:43]
	s_orn2_b64 s[92:93], vcc, exec
	s_branch .LBB2_774
.LBB2_779:                              ;   in Loop: Header=BB2_24 Depth=1
	s_or_b64 exec, exec, s[74:75]
	s_and_saveexec_b64 s[74:75], s[76:77]
	s_xor_b64 s[74:75], exec, s[74:75]
	s_cbranch_execz .LBB2_781
; %bb.780:                              ;   in Loop: Header=BB2_24 Depth=1
	v_mov_b32_e32 v0, 1
	ds_write_b32 v0, v0
	s_trap 2
.LBB2_781:                              ;   in Loop: Header=BB2_24 Depth=1
	s_or_b64 exec, exec, s[72:73]
	;;#ASMSTART
	s_wakeup
	;;#ASMEND
.LBB2_782:                              ;   in Loop: Header=BB2_24 Depth=1
	s_or_b64 exec, exec, s[62:63]
.LBB2_783:                              ;   in Loop: Header=BB2_24 Depth=1
	s_andn2_saveexec_b64 s[18:19], s[18:19]
	s_cbranch_execz .LBB2_785
; %bb.784:                              ;   in Loop: Header=BB2_24 Depth=1
	s_waitcnt lgkmcnt(0)
	buffer_wbinvl1_vol
	s_barrier
.LBB2_785:                              ;   in Loop: Header=BB2_24 Depth=1
	s_or_b64 exec, exec, s[18:19]
.LBB2_786:                              ;   in Loop: Header=BB2_24 Depth=1
	s_or_b64 exec, exec, s[16:17]
	s_and_saveexec_b64 s[16:17], s[14:15]
	s_cbranch_execz .LBB2_23
; %bb.787:                              ;   in Loop: Header=BB2_24 Depth=1
	buffer_load_dword v6, off, s[0:3], s32 offset:96 ; 4-byte Folded Reload
	buffer_load_dword v7, off, s[0:3], s32 offset:100 ; 4-byte Folded Reload
	v_add_co_u32_e32 v48, vcc, 1, v48
	v_addc_co_u32_e32 v49, vcc, 0, v49, vcc
	s_waitcnt vmcnt(0)
	flat_store_dwordx2 v[6:7], v[48:49]
	s_branch .LBB2_23
.LBB2_788:
	s_or_b64 exec, exec, s[28:29]
	buffer_load_dword v31, off, s[0:3], s32 offset:240 ; 4-byte Folded Reload
	buffer_load_dword v12, off, s[0:3], s32 offset:244 ; 4-byte Folded Reload
	;; [unrolled: 1-line block ×6, first 2 shown]
	s_or_b64 exec, exec, s[24:25]
	s_and_saveexec_b64 s[6:7], s[22:23]
	s_cbranch_execz .LBB2_20
.LBB2_789:
	s_waitcnt vmcnt(0) lgkmcnt(0)
	flat_store_dwordx2 v[26:27], v[48:49] offset:104
	s_or_b64 exec, exec, s[6:7]
	s_and_saveexec_b64 s[6:7], s[4:5]
	s_cbranch_execz .LBB2_21
.LBB2_790:
	s_waitcnt vmcnt(0) lgkmcnt(0)
	flat_store_dwordx2 v[24:25], v[16:17] offset:104
	s_or_b64 exec, exec, s[6:7]
	v_cmp_ne_u32_e32 vcc, 64, v1
	s_and_saveexec_b64 s[4:5], vcc
	s_cbranch_execz .LBB2_808
.LBB2_791:
	s_waitcnt vmcnt(0)
	v_cmp_ne_u32_sdwa s[6:7], v1, v12 src0_sel:DWORD src1_sel:WORD_0
	s_and_saveexec_b64 s[8:9], s[6:7]
	s_xor_b64 s[6:7], exec, s[8:9]
	s_cbranch_execz .LBB2_806
; %bb.792:
	s_waitcnt lgkmcnt(0)
	v_and_b32_e32 v0, 63, v31
	v_cmp_eq_u32_e32 vcc, 0, v0
	s_and_saveexec_b64 s[8:9], vcc
	s_cbranch_execz .LBB2_805
; %bb.793:
	s_mov_b64 s[12:13], exec
	v_mbcnt_lo_u32_b32 v0, s12, 0
	v_mbcnt_hi_u32_b32 v0, s13, v0
	v_cmp_eq_u32_e32 vcc, 0, v0
	buffer_wbinvl1_vol
	s_and_saveexec_b64 s[10:11], vcc
	s_cbranch_execz .LBB2_795
; %bb.794:
	s_bcnt1_i32_b64 s12, s[12:13]
	v_mov_b32_e32 v2, s12
	v_mov_b32_e32 v3, 0
	ds_add_u64 v0, v[2:3]
	s_trap 2
.LBB2_795:
	s_or_b64 exec, exec, s[10:11]
	v_lshrrev_b32_e32 v0, 6, v1
	s_trap 2
	ds_read_b64 v[2:3], v0
	s_waitcnt lgkmcnt(0)
	v_add_co_u32_e32 v0, vcc, v42, v0
	v_addc_co_u32_e32 v1, vcc, 0, v43, vcc
	v_cmp_lt_u64_e32 vcc, v[2:3], v[0:1]
	s_and_saveexec_b64 s[10:11], vcc
	s_cbranch_execz .LBB2_804
; %bb.796:
	s_mov_b32 s24, 0
	s_mov_b64 s[12:13], 0
                                        ; implicit-def: $sgpr14_sgpr15
                                        ; implicit-def: $sgpr16_sgpr17
	s_branch .LBB2_798
.LBB2_797:                              ;   in Loop: Header=BB2_798 Depth=1
	s_or_b64 exec, exec, s[20:21]
	s_and_b64 s[18:19], exec, s[22:23]
	s_or_b64 s[12:13], s[18:19], s[12:13]
	s_andn2_b64 s[14:15], s[14:15], exec
	s_and_b64 s[18:19], s[16:17], exec
	s_or_b64 s[14:15], s[14:15], s[18:19]
	s_andn2_b64 exec, exec, s[12:13]
	s_cbranch_execz .LBB2_802
.LBB2_798:                              ; =>This Inner Loop Header: Depth=1
	s_add_i32 s24, s24, 1
	s_cmpk_lg_i32 s24, 0x2710
	s_cselect_b64 s[18:19], -1, 0
	s_and_b64 vcc, exec, s[18:19]
	s_cbranch_vccz .LBB2_800
; %bb.799:                              ;   in Loop: Header=BB2_798 Depth=1
	s_mov_b64 s[22:23], -1
	s_or_b64 s[16:17], s[16:17], exec
	s_and_saveexec_b64 s[20:21], s[18:19]
	s_cbranch_execz .LBB2_797
	s_branch .LBB2_801
.LBB2_800:                              ;   in Loop: Header=BB2_798 Depth=1
	s_trap 2
	ds_read_b64 v[2:3], v0
	s_andn2_b64 s[18:19], s[18:19], exec
	s_mov_b32 s24, 0
	s_waitcnt lgkmcnt(0)
	flat_load_dword v2, v[2:3] glc
	s_waitcnt vmcnt(0) lgkmcnt(0)
	buffer_wbinvl1_vol
	v_cmp_eq_u32_e32 vcc, 0, v2
	s_and_b64 s[20:21], vcc, exec
	s_or_b64 s[18:19], s[18:19], s[20:21]
	s_mov_b64 s[22:23], -1
	s_or_b64 s[16:17], s[16:17], exec
	s_and_saveexec_b64 s[20:21], s[18:19]
	s_cbranch_execz .LBB2_797
.LBB2_801:                              ;   in Loop: Header=BB2_798 Depth=1
	s_sleep 1
	s_trap 2
	ds_read_b64 v[2:3], v0
	s_waitcnt lgkmcnt(0)
	s_andn2_b64 s[16:17], s[16:17], exec
	v_cmp_ge_u64_e32 vcc, v[2:3], v[0:1]
	s_orn2_b64 s[22:23], vcc, exec
	s_branch .LBB2_797
.LBB2_802:
	s_or_b64 exec, exec, s[12:13]
	s_and_saveexec_b64 s[12:13], s[14:15]
	s_xor_b64 s[12:13], exec, s[12:13]
	s_cbranch_execz .LBB2_804
; %bb.803:
	v_mov_b32_e32 v0, 1
	ds_write_b32 v0, v0
	s_trap 2
.LBB2_804:
	s_or_b64 exec, exec, s[10:11]
	;;#ASMSTART
	s_wakeup
	;;#ASMEND
.LBB2_805:
	s_or_b64 exec, exec, s[8:9]
.LBB2_806:
	s_andn2_saveexec_b64 s[6:7], s[6:7]
	s_cbranch_execz .LBB2_808
; %bb.807:
	s_waitcnt lgkmcnt(0)
	buffer_wbinvl1_vol
	s_barrier
.LBB2_808:
	s_or_b64 exec, exec, s[4:5]
	buffer_load_dword v62, off, s[0:3], s32 ; 4-byte Folded Reload
	buffer_load_dword v61, off, s[0:3], s32 offset:4 ; 4-byte Folded Reload
	buffer_load_dword v60, off, s[0:3], s32 offset:8 ; 4-byte Folded Reload
	;; [unrolled: 1-line block ×14, first 2 shown]
	v_readlane_b32 s30, v63, 12
	v_readlane_b32 s31, v63, 13
	;; [unrolled: 1-line block ×14, first 2 shown]
	s_or_saveexec_b64 s[4:5], -1
	buffer_load_dword v63, off, s[0:3], s32 offset:264 ; 4-byte Folded Reload
	s_mov_b64 exec, s[4:5]
	s_waitcnt vmcnt(0) lgkmcnt(0)
	s_setpc_b64 s[30:31]
.Lfunc_end2:
	.size	_ZN12_GLOBAL__N_17runRingI14__hip_fp8_e5m28FuncProdIS1_E7ProtoLLLi0ELi2ELi0EEEviiP15ncclDevWorkColl, .Lfunc_end2-_ZN12_GLOBAL__N_17runRingI14__hip_fp8_e5m28FuncProdIS1_E7ProtoLLLi0ELi2ELi0EEEviiP15ncclDevWorkColl
                                        ; -- End function
	.set .L_ZN12_GLOBAL__N_17runRingI14__hip_fp8_e5m28FuncProdIS1_E7ProtoLLLi0ELi2ELi0EEEviiP15ncclDevWorkColl.num_vgpr, 64
	.set .L_ZN12_GLOBAL__N_17runRingI14__hip_fp8_e5m28FuncProdIS1_E7ProtoLLLi0ELi2ELi0EEEviiP15ncclDevWorkColl.num_agpr, 0
	.set .L_ZN12_GLOBAL__N_17runRingI14__hip_fp8_e5m28FuncProdIS1_E7ProtoLLLi0ELi2ELi0EEEviiP15ncclDevWorkColl.numbered_sgpr, 96
	.set .L_ZN12_GLOBAL__N_17runRingI14__hip_fp8_e5m28FuncProdIS1_E7ProtoLLLi0ELi2ELi0EEEviiP15ncclDevWorkColl.num_named_barrier, 0
	.set .L_ZN12_GLOBAL__N_17runRingI14__hip_fp8_e5m28FuncProdIS1_E7ProtoLLLi0ELi2ELi0EEEviiP15ncclDevWorkColl.private_seg_size, 272
	.set .L_ZN12_GLOBAL__N_17runRingI14__hip_fp8_e5m28FuncProdIS1_E7ProtoLLLi0ELi2ELi0EEEviiP15ncclDevWorkColl.uses_vcc, 1
	.set .L_ZN12_GLOBAL__N_17runRingI14__hip_fp8_e5m28FuncProdIS1_E7ProtoLLLi0ELi2ELi0EEEviiP15ncclDevWorkColl.uses_flat_scratch, 0
	.set .L_ZN12_GLOBAL__N_17runRingI14__hip_fp8_e5m28FuncProdIS1_E7ProtoLLLi0ELi2ELi0EEEviiP15ncclDevWorkColl.has_dyn_sized_stack, 0
	.set .L_ZN12_GLOBAL__N_17runRingI14__hip_fp8_e5m28FuncProdIS1_E7ProtoLLLi0ELi2ELi0EEEviiP15ncclDevWorkColl.has_recursion, 0
	.set .L_ZN12_GLOBAL__N_17runRingI14__hip_fp8_e5m28FuncProdIS1_E7ProtoLLLi0ELi2ELi0EEEviiP15ncclDevWorkColl.has_indirect_call, 0
	.section	.AMDGPU.csdata,"",@progbits
; Function info:
; codeLenInByte = 22908
; TotalNumSgprs: 100
; NumVgprs: 64
; ScratchSize: 272
; MemoryBound: 0
	.text
	.p2align	2                               ; -- Begin function _Z51ncclDevFunc_ReduceScatter_RING_LL_Prod_f8e5m2_0_0_2v
	.type	_Z51ncclDevFunc_ReduceScatter_RING_LL_Prod_f8e5m2_0_0_2v,@function
_Z51ncclDevFunc_ReduceScatter_RING_LL_Prod_f8e5m2_0_0_2v: ; @_Z51ncclDevFunc_ReduceScatter_RING_LL_Prod_f8e5m2_0_0_2v
; %bb.0:
	s_waitcnt vmcnt(0) expcnt(0) lgkmcnt(0)
	s_mov_b32 s4, s33
	s_mov_b32 s33, s32
	s_or_saveexec_b64 s[6:7], -1
	buffer_store_dword v43, off, s[0:3], s33 offset:16 ; 4-byte Folded Spill
	s_mov_b64 exec, s[6:7]
	v_writelane_b32 v43, s4, 20
	s_addk_i32 s32, 0x800
	buffer_store_dword v40, off, s[0:3], s33 offset:12 ; 4-byte Folded Spill
	buffer_store_dword v41, off, s[0:3], s33 offset:8 ; 4-byte Folded Spill
	;; [unrolled: 1-line block ×3, first 2 shown]
	buffer_store_dword v63, off, s[0:3], s33 ; 4-byte Folded Spill
	v_writelane_b32 v43, s34, 0
	v_writelane_b32 v43, s35, 1
	;; [unrolled: 1-line block ×20, first 2 shown]
	s_trap 2
	ds_read_b32 v0, v0
	v_mov_b32_e32 v40, v31
	s_mov_b32 s64, s12
	s_mov_b64 s[54:55], s[8:9]
	s_waitcnt lgkmcnt(0)
	v_cmp_gt_i32_e32 vcc, 1, v0
	s_cbranch_vccnz .LBB3_8
; %bb.1:
	s_mov_b32 s65, 0
	v_and_b32_e32 v41, 0x3ff, v40
	v_mov_b32_e32 v42, 6
	s_branch .LBB3_3
.LBB3_2:                                ;   in Loop: Header=BB3_3 Depth=1
	s_or_b64 exec, exec, s[66:67]
	s_trap 2
	ds_read_b32 v0, v0
	s_add_i32 s65, s65, 1
	s_waitcnt lgkmcnt(0)
	v_cmp_lt_i32_e32 vcc, s65, v0
	s_cbranch_vccz .LBB3_8
.LBB3_3:                                ; =>This Inner Loop Header: Depth=1
	s_trap 2
	ds_read_b32 v0, v0
	s_cmp_eq_u32 s65, 0
	s_cbranch_scc1 .LBB3_6
; %bb.4:                                ;   in Loop: Header=BB3_3 Depth=1
	s_trap 2
	s_waitcnt lgkmcnt(0)
	ds_read_b32 v1, v0
	s_waitcnt lgkmcnt(0)
	v_xor_b32_e32 v1, v1, v0
	v_and_b32_e32 v1, 0xff0000, v1
	v_cmp_eq_u32_e32 vcc, 0, v1
	s_cbranch_vccnz .LBB3_6
; %bb.5:                                ;   in Loop: Header=BB3_3 Depth=1
	s_waitcnt vmcnt(0)
	s_barrier
	ds_read_b32 v0, v0
.LBB3_6:                                ;   in Loop: Header=BB3_3 Depth=1
	s_waitcnt lgkmcnt(0)
	v_lshlrev_b32_sdwa v1, v42, v0 dst_sel:DWORD dst_unused:UNUSED_PAD src0_sel:DWORD src1_sel:BYTE_2
	v_cmp_lt_u32_e32 vcc, v41, v1
	s_and_saveexec_b64 s[66:67], vcc
	s_cbranch_execz .LBB3_2
; %bb.7:                                ;   in Loop: Header=BB3_3 Depth=1
	s_mov_b64 s[4:5], src_shared_base
	s_getpc_b64 s[6:7]
	s_add_u32 s6, s6, _ZN12_GLOBAL__N_17runRingI14__hip_fp8_e5m28FuncProdIS1_E7ProtoLLLi0ELi2ELi0EEEviiP15ncclDevWorkColl@rel32@lo+4
	s_addc_u32 s7, s7, _ZN12_GLOBAL__N_17runRingI14__hip_fp8_e5m28FuncProdIS1_E7ProtoLLLi0ELi2ELi0EEEviiP15ncclDevWorkColl@rel32@hi+12
	s_mov_b64 s[8:9], s[54:55]
	s_mov_b32 s12, s64
	v_mov_b32_e32 v31, v40
	v_mov_b32_e32 v0, v41
	;; [unrolled: 1-line block ×3, first 2 shown]
	s_swappc_b64 s[30:31], s[6:7]
	s_branch .LBB3_2
.LBB3_8:
	buffer_load_dword v63, off, s[0:3], s33 ; 4-byte Folded Reload
	buffer_load_dword v42, off, s[0:3], s33 offset:4 ; 4-byte Folded Reload
	buffer_load_dword v41, off, s[0:3], s33 offset:8 ; 4-byte Folded Reload
	;; [unrolled: 1-line block ×3, first 2 shown]
	v_readlane_b32 s30, v43, 18
	v_readlane_b32 s31, v43, 19
	;; [unrolled: 1-line block ×20, first 2 shown]
	s_mov_b32 s32, s33
	v_readlane_b32 s4, v43, 20
	s_or_saveexec_b64 s[6:7], -1
	buffer_load_dword v43, off, s[0:3], s33 offset:16 ; 4-byte Folded Reload
	s_mov_b64 exec, s[6:7]
	s_mov_b32 s33, s4
	s_waitcnt vmcnt(0)
	s_setpc_b64 s[30:31]
.Lfunc_end3:
	.size	_Z51ncclDevFunc_ReduceScatter_RING_LL_Prod_f8e5m2_0_0_2v, .Lfunc_end3-_Z51ncclDevFunc_ReduceScatter_RING_LL_Prod_f8e5m2_0_0_2v
                                        ; -- End function
	.set .L_Z51ncclDevFunc_ReduceScatter_RING_LL_Prod_f8e5m2_0_0_2v.num_vgpr, max(64, .L_ZN12_GLOBAL__N_17runRingI14__hip_fp8_e5m28FuncProdIS1_E7ProtoLLLi0ELi2ELi0EEEviiP15ncclDevWorkColl.num_vgpr)
	.set .L_Z51ncclDevFunc_ReduceScatter_RING_LL_Prod_f8e5m2_0_0_2v.num_agpr, max(0, .L_ZN12_GLOBAL__N_17runRingI14__hip_fp8_e5m28FuncProdIS1_E7ProtoLLLi0ELi2ELi0EEEviiP15ncclDevWorkColl.num_agpr)
	.set .L_Z51ncclDevFunc_ReduceScatter_RING_LL_Prod_f8e5m2_0_0_2v.numbered_sgpr, max(68, .L_ZN12_GLOBAL__N_17runRingI14__hip_fp8_e5m28FuncProdIS1_E7ProtoLLLi0ELi2ELi0EEEviiP15ncclDevWorkColl.numbered_sgpr)
	.set .L_Z51ncclDevFunc_ReduceScatter_RING_LL_Prod_f8e5m2_0_0_2v.num_named_barrier, max(0, .L_ZN12_GLOBAL__N_17runRingI14__hip_fp8_e5m28FuncProdIS1_E7ProtoLLLi0ELi2ELi0EEEviiP15ncclDevWorkColl.num_named_barrier)
	.set .L_Z51ncclDevFunc_ReduceScatter_RING_LL_Prod_f8e5m2_0_0_2v.private_seg_size, 32+max(.L_ZN12_GLOBAL__N_17runRingI14__hip_fp8_e5m28FuncProdIS1_E7ProtoLLLi0ELi2ELi0EEEviiP15ncclDevWorkColl.private_seg_size)
	.set .L_Z51ncclDevFunc_ReduceScatter_RING_LL_Prod_f8e5m2_0_0_2v.uses_vcc, or(1, .L_ZN12_GLOBAL__N_17runRingI14__hip_fp8_e5m28FuncProdIS1_E7ProtoLLLi0ELi2ELi0EEEviiP15ncclDevWorkColl.uses_vcc)
	.set .L_Z51ncclDevFunc_ReduceScatter_RING_LL_Prod_f8e5m2_0_0_2v.uses_flat_scratch, or(0, .L_ZN12_GLOBAL__N_17runRingI14__hip_fp8_e5m28FuncProdIS1_E7ProtoLLLi0ELi2ELi0EEEviiP15ncclDevWorkColl.uses_flat_scratch)
	.set .L_Z51ncclDevFunc_ReduceScatter_RING_LL_Prod_f8e5m2_0_0_2v.has_dyn_sized_stack, or(0, .L_ZN12_GLOBAL__N_17runRingI14__hip_fp8_e5m28FuncProdIS1_E7ProtoLLLi0ELi2ELi0EEEviiP15ncclDevWorkColl.has_dyn_sized_stack)
	.set .L_Z51ncclDevFunc_ReduceScatter_RING_LL_Prod_f8e5m2_0_0_2v.has_recursion, or(1, .L_ZN12_GLOBAL__N_17runRingI14__hip_fp8_e5m28FuncProdIS1_E7ProtoLLLi0ELi2ELi0EEEviiP15ncclDevWorkColl.has_recursion)
	.set .L_Z51ncclDevFunc_ReduceScatter_RING_LL_Prod_f8e5m2_0_0_2v.has_indirect_call, or(0, .L_ZN12_GLOBAL__N_17runRingI14__hip_fp8_e5m28FuncProdIS1_E7ProtoLLLi0ELi2ELi0EEEviiP15ncclDevWorkColl.has_indirect_call)
	.section	.AMDGPU.csdata,"",@progbits
; Function info:
; codeLenInByte = 704
; TotalNumSgprs: 100
; NumVgprs: 64
; ScratchSize: 304
; MemoryBound: 0
	.text
	.p2align	2                               ; -- Begin function _ZN12_GLOBAL__N_17runRingI14__hip_fp8_e5m28FuncProdIS1_E7ProtoLLLi0ELi4ELi0EEEviiP15ncclDevWorkColl
	.type	_ZN12_GLOBAL__N_17runRingI14__hip_fp8_e5m28FuncProdIS1_E7ProtoLLLi0ELi4ELi0EEEviiP15ncclDevWorkColl,@function
_ZN12_GLOBAL__N_17runRingI14__hip_fp8_e5m28FuncProdIS1_E7ProtoLLLi0ELi4ELi0EEEviiP15ncclDevWorkColl: ; @_ZN12_GLOBAL__N_17runRingI14__hip_fp8_e5m28FuncProdIS1_E7ProtoLLLi0ELi4ELi0EEEviiP15ncclDevWorkColl
; %bb.0:
	s_waitcnt vmcnt(0) expcnt(0) lgkmcnt(0)
	s_or_saveexec_b64 s[4:5], -1
	buffer_store_dword v63, off, s[0:3], s32 offset:264 ; 4-byte Folded Spill
	s_mov_b64 exec, s[4:5]
	buffer_store_dword v40, off, s[0:3], s32 offset:56 ; 4-byte Folded Spill
	buffer_store_dword v41, off, s[0:3], s32 offset:52 ; 4-byte Folded Spill
	;; [unrolled: 1-line block ×14, first 2 shown]
	buffer_store_dword v62, off, s[0:3], s32 ; 4-byte Folded Spill
	v_writelane_b32 v63, s34, 0
	v_writelane_b32 v63, s35, 1
	;; [unrolled: 1-line block ×14, first 2 shown]
	s_trap 2
	flat_load_dword v6, v[2:3]
	flat_load_dwordx4 v[10:13], v[2:3] offset:72
	flat_load_dwordx2 v[18:19], v[2:3] offset:88
	v_mov_b32_e32 v9, v0
	ds_read_b32 v4, v0
	s_waitcnt lgkmcnt(0)
	v_readfirstlane_b32 s20, v4
	s_waitcnt vmcnt(0)
	v_not_b32_sdwa v5, v6 dst_sel:DWORD dst_unused:UNUSED_PAD src0_sel:BYTE_0
	v_add_u32_sdwa v0, v6, v5 dst_sel:DWORD dst_unused:UNUSED_PAD src0_sel:BYTE_1 src1_sel:DWORD
	v_mul_lo_u32 v8, v13, v0
	v_mad_u64_u32 v[20:21], s[4:5], v12, v0, 0
	buffer_store_dword v10, off, s[0:3], s32 offset:148 ; 4-byte Folded Spill
	s_nop 0
	buffer_store_dword v11, off, s[0:3], s32 offset:152 ; 4-byte Folded Spill
	buffer_store_dword v12, off, s[0:3], s32 offset:156 ; 4-byte Folded Spill
	;; [unrolled: 1-line block ×3, first 2 shown]
	v_ashrrev_i32_e32 v7, 31, v0
	v_cmp_ne_u32_sdwa s[4:5], v4, v6 src0_sel:DWORD src1_sel:BYTE_0
	v_mul_lo_u32 v0, v12, v7
	ds_read_b64 v[10:11], v0
	v_add3_u32 v0, v21, v0, v8
	s_waitcnt lgkmcnt(0)
	buffer_store_dword v10, off, s[0:3], s32 offset:68 ; 4-byte Folded Spill
	s_nop 0
	buffer_store_dword v11, off, s[0:3], s32 offset:72 ; 4-byte Folded Spill
                                        ; implicit-def: $vgpr21_vgpr22
                                        ; implicit-def: $vgpr7_vgpr8
                                        ; kill: killed $vgpr7_vgpr8
	s_and_saveexec_b64 s[6:7], s[4:5]
	s_xor_b64 s[4:5], exec, s[6:7]
	s_cbranch_execz .LBB4_6
; %bb.1:
	v_cmp_ne_u32_sdwa s[6:7], v4, v6 src0_sel:DWORD src1_sel:BYTE_1
                                        ; implicit-def: $vgpr21_vgpr22
                                        ; implicit-def: $vgpr6_vgpr7
                                        ; kill: killed $vgpr6_vgpr7
	s_and_saveexec_b64 s[10:11], s[6:7]
	s_xor_b64 s[6:7], exec, s[10:11]
	s_cbranch_execz .LBB4_3
; %bb.2:
	flat_load_dwordx2 v[6:7], v[2:3] offset:96
	buffer_load_dword v10, off, s[0:3], s32 offset:148 ; 4-byte Folded Reload
	buffer_load_dword v11, off, s[0:3], s32 offset:152 ; 4-byte Folded Reload
	;; [unrolled: 1-line block ×4, first 2 shown]
	v_add_u32_e32 v4, v4, v5
	v_ashrrev_i32_e32 v5, 31, v4
	s_waitcnt vmcnt(0)
	v_mul_lo_u32 v5, v12, v5
	v_mul_lo_u32 v8, v13, v4
	v_mad_u64_u32 v[10:11], s[10:11], v12, v4, v[10:11]
	s_waitcnt lgkmcnt(0)
	v_lshrrev_b64 v[21:22], 17, v[6:7]
	v_add3_u32 v11, v8, v11, v5
	buffer_store_dword v10, off, s[0:3], s32 offset:164 ; 4-byte Folded Spill
	s_nop 0
	buffer_store_dword v11, off, s[0:3], s32 offset:168 ; 4-byte Folded Spill
.LBB4_3:
	s_andn2_saveexec_b64 s[6:7], s[6:7]
	s_cbranch_execz .LBB4_5
; %bb.4:
	flat_load_dword v4, v[2:3] offset:100
	buffer_load_dword v5, off, s[0:3], s32 offset:148 ; 4-byte Folded Reload
	buffer_load_dword v6, off, s[0:3], s32 offset:152 ; 4-byte Folded Reload
	;; [unrolled: 1-line block ×4, first 2 shown]
	s_waitcnt vmcnt(0)
	v_add_co_u32_e32 v7, vcc, v20, v5
	v_addc_co_u32_e32 v8, vcc, v0, v6, vcc
	buffer_store_dword v7, off, s[0:3], s32 offset:164 ; 4-byte Folded Spill
	s_nop 0
	buffer_store_dword v8, off, s[0:3], s32 offset:168 ; 4-byte Folded Spill
	v_mov_b32_e32 v7, v18
	s_waitcnt lgkmcnt(0)
	v_lshrrev_b32_e32 v21, 6, v4
	v_mov_b32_e32 v8, v19
	buffer_store_dword v5, off, s[0:3], s32 offset:148 ; 4-byte Folded Spill
	s_nop 0
	buffer_store_dword v6, off, s[0:3], s32 offset:152 ; 4-byte Folded Spill
	buffer_store_dword v7, off, s[0:3], s32 offset:156 ; 4-byte Folded Spill
	;; [unrolled: 1-line block ×3, first 2 shown]
.LBB4_5:
	s_or_b64 exec, exec, s[6:7]
.LBB4_6:
	s_andn2_saveexec_b64 s[4:5], s[4:5]
	s_cbranch_execz .LBB4_8
; %bb.7:
	flat_load_dwordx2 v[4:5], v[2:3] offset:96
	s_waitcnt vmcnt(0) lgkmcnt(0)
	v_lshlrev_b64 v[21:22], 4, v[4:5]
	v_mov_b32_e32 v4, 0
	v_mov_b32_e32 v5, 0
	buffer_store_dword v4, off, s[0:3], s32 offset:164 ; 4-byte Folded Spill
	s_nop 0
	buffer_store_dword v5, off, s[0:3], s32 offset:168 ; 4-byte Folded Spill
	buffer_load_dword v4, off, s[0:3], s32 offset:148 ; 4-byte Folded Reload
	s_nop 0
	buffer_load_dword v5, off, s[0:3], s32 offset:152 ; 4-byte Folded Reload
	buffer_load_dword v6, off, s[0:3], s32 offset:156 ; 4-byte Folded Reload
	;; [unrolled: 1-line block ×3, first 2 shown]
	s_waitcnt vmcnt(0)
	v_mov_b32_e32 v7, v5
	v_mov_b32_e32 v6, v4
	buffer_store_dword v4, off, s[0:3], s32 offset:148 ; 4-byte Folded Spill
	s_nop 0
	buffer_store_dword v5, off, s[0:3], s32 offset:152 ; 4-byte Folded Spill
	buffer_store_dword v6, off, s[0:3], s32 offset:156 ; 4-byte Folded Spill
	;; [unrolled: 1-line block ×3, first 2 shown]
.LBB4_8:
	s_or_b64 exec, exec, s[4:5]
	flat_load_dwordx4 v[4:7], v[2:3] offset:16
	v_ashrrev_i32_e32 v10, 31, v9
	v_mov_b32_e32 v24, 0
	s_mov_b32 s6, 0
	v_mov_b32_e32 v25, 0
	s_waitcnt vmcnt(0) lgkmcnt(0)
	buffer_store_dword v4, off, s[0:3], s32 offset:196 ; 4-byte Folded Spill
	s_nop 0
	buffer_store_dword v5, off, s[0:3], s32 offset:200 ; 4-byte Folded Spill
	buffer_store_dword v6, off, s[0:3], s32 offset:204 ; 4-byte Folded Spill
	buffer_store_dword v7, off, s[0:3], s32 offset:208 ; 4-byte Folded Spill
	flat_load_ushort v5, v[2:3] offset:8
	s_nop 0
	flat_load_dword v4, v[2:3] offset:4
	s_waitcnt vmcnt(0) lgkmcnt(0)
	v_lshrrev_b64 v[2:3], 31, v[4:5]
	v_mov_b32_e32 v3, 0
	v_and_b32_e32 v5, 3, v2
	v_lshrrev_b32_e32 v2, 26, v10
	v_add_u32_e32 v2, v9, v2
	buffer_store_dword v9, off, s[0:3], s32 offset:60 ; 4-byte Folded Spill
	s_nop 0
	buffer_store_dword v10, off, s[0:3], s32 offset:64 ; 4-byte Folded Spill
	s_load_dword s4, s[8:9], 0x0
	v_and_b32_e32 v2, 0xffffffc0, v2
	s_waitcnt lgkmcnt(0)
	s_cmp_lt_u32 s12, s4
	s_cselect_b32 s4, 12, 18
	s_add_u32 s4, s8, s4
	s_addc_u32 s5, s9, 0
	global_load_ushort v12, v3, s[4:5]
	s_trap 2
	v_sub_u32_e32 v4, v9, v2
	ds_read_b32 v2, v0
	v_cmp_eq_u32_e64 s[4:5], 0, v4
	s_waitcnt lgkmcnt(0)
	v_cmp_gt_i32_e32 vcc, 0, v2
	v_readfirstlane_b32 s8, v2
	s_cbranch_vccnz .LBB4_10
; %bb.9:
	s_trap 2
	ds_read_b64 v[6:7], v0
	v_lshlrev_b64 v[2:3], 3, v[2:3]
	s_movk_i32 s6, 0xa8
	s_waitcnt lgkmcnt(0)
	v_add_co_u32_e32 v2, vcc, v6, v2
	v_addc_co_u32_e32 v3, vcc, v7, v3, vcc
	flat_load_dwordx2 v[2:3], v[2:3]
	v_and_b32_e32 v6, 0xffff, v5
	s_waitcnt vmcnt(0) lgkmcnt(0)
	v_mad_u64_u32 v[2:3], s[6:7], v6, s6, v[2:3]
	s_mov_b32 s6, 1
	flat_load_dwordx2 v[6:7], v[2:3] offset:504
	v_add_co_u32_e32 v26, vcc, 0x1f8, v2
	v_addc_co_u32_e32 v27, vcc, 0, v3, vcc
	s_waitcnt vmcnt(0) lgkmcnt(0)
	buffer_store_dword v6, off, s[0:3], s32 offset:104 ; 4-byte Folded Spill
	s_nop 0
	buffer_store_dword v7, off, s[0:3], s32 offset:108 ; 4-byte Folded Spill
	flat_load_dwordx2 v[36:37], v[2:3] offset:608
	v_cndmask_b32_e64 v3, 0, v27, s[4:5]
	v_cndmask_b32_e64 v2, 0, v26, s[4:5]
	s_branch .LBB4_11
.LBB4_10:
	v_mov_b32_e32 v26, 0
	v_mov_b32_e32 v2, 0
	;; [unrolled: 1-line block ×4, first 2 shown]
                                        ; implicit-def: $vgpr36_vgpr37
                                        ; implicit-def: $vgpr6_vgpr7
                                        ; kill: killed $vgpr6_vgpr7
.LBB4_11:
	s_trap 2
	ds_read_b32 v14, v0
	s_waitcnt lgkmcnt(0)
	v_cmp_gt_i32_e32 vcc, 0, v14
	s_cbranch_vccnz .LBB4_13
; %bb.12:
	s_trap 2
	ds_read_b64 v[6:7], v0
	v_mov_b32_e32 v15, 0
	v_lshlrev_b64 v[8:9], 3, v[14:15]
	v_and_b32_e32 v5, 0xffff, v5
	s_movk_i32 s4, 0xa8
	s_waitcnt lgkmcnt(0)
	v_add_co_u32_e32 v6, vcc, v6, v8
	v_addc_co_u32_e32 v7, vcc, v7, v9, vcc
	flat_load_dwordx2 v[6:7], v[6:7]
	v_cmp_eq_u32_e32 vcc, 0, v4
	s_waitcnt vmcnt(0) lgkmcnt(0)
	v_mad_u64_u32 v[24:25], s[4:5], v5, s4, v[6:7]
	flat_load_dwordx2 v[5:6], v[24:25]
	v_cndmask_b32_e32 v17, 0, v25, vcc
	v_cndmask_b32_e32 v16, 0, v24, vcc
	s_waitcnt vmcnt(0) lgkmcnt(0)
	buffer_store_dword v5, off, s[0:3], s32 offset:76 ; 4-byte Folded Spill
	s_nop 0
	buffer_store_dword v6, off, s[0:3], s32 offset:80 ; 4-byte Folded Spill
	flat_load_dwordx2 v[22:23], v[24:25] offset:104
	s_branch .LBB4_14
.LBB4_13:
	v_mov_b32_e32 v16, 0
	v_mov_b32_e32 v17, 0
                                        ; implicit-def: $vgpr22_vgpr23
                                        ; implicit-def: $vgpr5_vgpr6
                                        ; kill: killed $vgpr5_vgpr6
.LBB4_14:
	buffer_load_dword v6, off, s[0:3], s32 offset:60 ; 4-byte Folded Reload
	buffer_load_dword v7, off, s[0:3], s32 offset:64 ; 4-byte Folded Reload
	v_subrev_u32_e32 v5, 64, v1
	v_cmp_gt_i32_e64 s[4:5], s6, v4
	v_mov_b32_e32 v14, 0
	v_mov_b32_e32 v15, 0
                                        ; implicit-def: $vgpr48_vgpr49
	s_waitcnt vmcnt(0)
	v_cmp_ge_i32_e32 vcc, v6, v5
	v_mov_b32_e32 v4, 0
	v_mov_b32_e32 v5, 0
	s_and_b64 s[22:23], vcc, s[4:5]
	buffer_store_dword v4, off, s[0:3], s32 offset:96 ; 4-byte Folded Spill
	s_nop 0
	buffer_store_dword v5, off, s[0:3], s32 offset:100 ; 4-byte Folded Spill
	s_and_saveexec_b64 s[4:5], s[22:23]
	s_cbranch_execz .LBB4_16
; %bb.15:
	flat_load_dwordx2 v[4:5], v[2:3] offset:56
	s_waitcnt vmcnt(0) lgkmcnt(0)
	buffer_store_dword v4, off, s[0:3], s32 offset:96 ; 4-byte Folded Spill
	s_nop 0
	buffer_store_dword v5, off, s[0:3], s32 offset:100 ; 4-byte Folded Spill
	flat_load_dwordx2 v[48:49], v[2:3] offset:104
.LBB4_16:
	s_or_b64 exec, exec, s[4:5]
	buffer_load_dword v2, off, s[0:3], s32 offset:60 ; 4-byte Folded Reload
	buffer_load_dword v3, off, s[0:3], s32 offset:64 ; 4-byte Folded Reload
	v_mov_b32_e32 v52, 0
	v_mov_b32_e32 v53, 0
                                        ; implicit-def: $vgpr54_vgpr55
	s_waitcnt vmcnt(0)
	v_cmp_gt_i32_e64 s[4:5], s6, v2
	s_and_saveexec_b64 s[6:7], s[4:5]
	s_cbranch_execz .LBB4_18
; %bb.17:
	flat_load_dwordx2 v[52:53], v[16:17] offset:56
	s_waitcnt vmcnt(0) lgkmcnt(0)
	flat_load_dwordx2 v[54:55], v[52:53] glc
	s_waitcnt vmcnt(0)
	flat_load_dwordx4 v[14:17], v[16:17] offset:96
.LBB4_18:
	s_or_b64 exec, exec, s[6:7]
	buffer_load_dword v8, off, s[0:3], s32 offset:148 ; 4-byte Folded Reload
	buffer_load_dword v9, off, s[0:3], s32 offset:152 ; 4-byte Folded Reload
	;; [unrolled: 1-line block ×4, first 2 shown]
	v_mov_b32_e32 v42, 0
	v_mov_b32_e32 v43, 0
	s_waitcnt vmcnt(0)
	v_cmp_ne_u64_e32 vcc, 0, v[10:11]
	s_and_saveexec_b64 s[24:25], vcc
	s_cbranch_execnz .LBB4_22
; %bb.19:
	s_or_b64 exec, exec, s[24:25]
	s_and_saveexec_b64 s[6:7], s[22:23]
	s_cbranch_execnz .LBB4_789
.LBB4_20:
	s_or_b64 exec, exec, s[6:7]
	s_and_saveexec_b64 s[6:7], s[4:5]
	s_cbranch_execnz .LBB4_790
.LBB4_21:
	s_or_b64 exec, exec, s[6:7]
	v_cmp_ne_u32_e32 vcc, 64, v1
	s_and_saveexec_b64 s[4:5], vcc
	s_cbranch_execnz .LBB4_791
	s_branch .LBB4_808
.LBB4_22:
	v_add_co_u32_e32 v2, vcc, v18, v8
	v_addc_co_u32_e32 v4, vcc, v19, v9, vcc
	v_add_co_u32_e32 v2, vcc, v2, v20
	v_addc_co_u32_e32 v0, vcc, v4, v0, vcc
	buffer_store_dword v26, off, s[0:3], s32 offset:256 ; 4-byte Folded Spill
	s_nop 0
	buffer_store_dword v27, off, s[0:3], s32 offset:260 ; 4-byte Folded Spill
	buffer_store_dword v24, off, s[0:3], s32 offset:248 ; 4-byte Folded Spill
	s_nop 0
	buffer_store_dword v25, off, s[0:3], s32 offset:252 ; 4-byte Folded Spill
	buffer_store_dword v2, off, s[0:3], s32 offset:88 ; 4-byte Folded Spill
	;; [unrolled: 1-line block ×3, first 2 shown]
	buffer_load_dword v4, off, s[0:3], s32 offset:68 ; 4-byte Folded Reload
	buffer_load_dword v5, off, s[0:3], s32 offset:72 ; 4-byte Folded Reload
	s_ashr_i32 s6, s8, 31
	s_lshr_b32 s6, s6, 29
	s_ashr_i32 s21, s20, 31
	s_add_i32 s8, s8, s6
	s_lshl_b64 s[6:7], s[20:21], 2
	v_mov_b32_e32 v0, s7
	v_cmp_ne_u32_sdwa s[40:41], v1, v12 src0_sel:DWORD src1_sel:WORD_0
	v_mov_b32_e32 v3, 0
	s_ashr_i32 s10, s8, 3
	s_ashr_i32 s36, s8, 7
	s_and_b32 s21, s10, -16
	s_waitcnt lgkmcnt(0)
	v_cmp_ne_u64_e64 s[8:9], 0, v[14:15]
	s_cmp_gt_i32 s20, 2
	s_mov_b32 s46, -1
	v_mov_b32_e32 v28, 0
	v_mov_b32_e32 v42, 0
	v_and_b32_e32 v24, 0x1fffff0, v21
	s_mov_b32 s27, 0
	v_mov_b32_e32 v25, v3
	s_mov_b64 s[28:29], 0
	v_cmp_ne_u32_e64 s[10:11], 64, v1
	v_lshlrev_b32_e32 v13, 3, v1
	s_cselect_b64 s[42:43], -1, 0
	s_mov_b64 s[44:45], 0x7ffffff8
	s_movk_i32 s37, 0xff
	s_movk_i32 s38, 0xff80
	;; [unrolled: 1-line block ×3, first 2 shown]
	s_mov_b32 s47, 0xffffff
	s_mov_b64 s[56:57], 0x7f800000
	s_movk_i32 s48, 0x80
	s_mov_b64 s[58:59], 0x47600001
	s_movk_i32 s49, 0x72
	;; [unrolled: 2-line block ×3, first 2 shown]
	s_mov_b32 s51, 0x7c0000
	s_brev_b32 s52, 62
	v_mov_b32_e32 v27, -1
	v_mov_b32_e32 v40, 0x70
	v_mov_b32_e32 v41, 0xffffff82
	;; [unrolled: 1-line block ×6, first 2 shown]
	s_waitcnt vmcnt(1)
	v_add_co_u32_e32 v2, vcc, s6, v4
	s_waitcnt vmcnt(0)
	v_addc_co_u32_e32 v0, vcc, v5, v0, vcc
	v_add_co_u32_e32 v4, vcc, -4, v2
	v_addc_co_u32_e32 v5, vcc, -1, v0, vcc
	v_and_b32_e32 v0, 63, v31
	v_cmp_eq_u32_e64 s[12:13], 0, v0
	v_lshrrev_b32_e32 v0, 6, v1
	buffer_store_dword v4, off, s[0:3], s32 offset:180 ; 4-byte Folded Spill
	s_nop 0
	buffer_store_dword v5, off, s[0:3], s32 offset:184 ; 4-byte Folded Spill
	buffer_store_dword v12, off, s[0:3], s32 offset:244 ; 4-byte Folded Spill
	;; [unrolled: 1-line block ×4, first 2 shown]
	buffer_load_dword v4, off, s[0:3], s32 offset:60 ; 4-byte Folded Reload
	s_nop 0
	buffer_load_dword v5, off, s[0:3], s32 offset:64 ; 4-byte Folded Reload
	buffer_load_dword v6, off, s[0:3], s32 offset:196 ; 4-byte Folded Reload
	buffer_load_dword v7, off, s[0:3], s32 offset:200 ; 4-byte Folded Reload
	buffer_load_dword v8, off, s[0:3], s32 offset:204 ; 4-byte Folded Reload
	buffer_load_dword v9, off, s[0:3], s32 offset:208 ; 4-byte Folded Reload
	v_cmp_ne_u64_e64 s[6:7], 0, v[52:53]
	s_waitcnt vmcnt(5)
	v_lshlrev_b32_e32 v12, 3, v4
	v_ashrrev_i32_e32 v20, 31, v12
	s_waitcnt vmcnt(1)
	v_add_co_u32_e32 v0, vcc, v8, v12
	buffer_store_dword v0, off, s[0:3], s32 offset:216 ; 4-byte Folded Spill
	s_waitcnt vmcnt(1)
	v_addc_co_u32_e32 v0, vcc, v9, v20, vcc
	buffer_store_dword v0, off, s[0:3], s32 offset:220 ; 4-byte Folded Spill
	v_add_co_u32_e32 v0, vcc, v6, v12
	buffer_load_dword v18, off, s[0:3], s32 offset:96 ; 4-byte Folded Reload
	buffer_load_dword v19, off, s[0:3], s32 offset:100 ; 4-byte Folded Reload
	v_lshlrev_b64 v[4:5], 4, v[4:5]
	buffer_store_dword v0, off, s[0:3], s32 offset:224 ; 4-byte Folded Spill
	v_addc_co_u32_e32 v0, vcc, v7, v20, vcc
	buffer_store_dword v0, off, s[0:3], s32 offset:228 ; 4-byte Folded Spill
	buffer_load_dword v6, off, s[0:3], s32 offset:164 ; 4-byte Folded Reload
	buffer_load_dword v7, off, s[0:3], s32 offset:168 ; 4-byte Folded Reload
	s_waitcnt vmcnt(4)
	v_cmp_ne_u64_e64 s[14:15], 0, v[18:19]
	buffer_store_dword v12, off, s[0:3], s32 offset:144 ; 4-byte Folded Spill
	buffer_store_dword v20, off, s[0:3], s32 offset:212 ; 4-byte Folded Spill
	s_waitcnt vmcnt(3)
	v_add_co_u32_e32 v0, vcc, v6, v8
	s_waitcnt vmcnt(2)
	v_addc_co_u32_e32 v2, vcc, v7, v9, vcc
	v_add_co_u32_e32 v6, vcc, v0, v12
	v_addc_co_u32_e32 v7, vcc, v2, v20, vcc
	v_lshlrev_b32_e32 v0, 6, v1
	buffer_store_dword v6, off, s[0:3], s32 offset:128 ; 4-byte Folded Spill
	s_nop 0
	buffer_store_dword v7, off, s[0:3], s32 offset:132 ; 4-byte Folded Spill
	buffer_store_dword v0, off, s[0:3], s32 offset:84 ; 4-byte Folded Spill
	buffer_load_dword v6, off, s[0:3], s32 offset:76 ; 4-byte Folded Reload
	s_nop 0
	buffer_load_dword v7, off, s[0:3], s32 offset:80 ; 4-byte Folded Reload
	v_mov_b32_e32 v2, v3
	v_lshlrev_b64 v[44:45], 4, v[1:2]
	v_mov_b32_e32 v8, 0x7f800000
	v_mov_b32_e32 v9, 0x7f800001
	v_bfrev_b32_e32 v12, 0.5
	s_waitcnt vmcnt(1)
	v_add_co_u32_e32 v0, vcc, v6, v4
	buffer_store_dword v0, off, s[0:3], s32 offset:232 ; 4-byte Folded Spill
	s_waitcnt vmcnt(1)
	v_addc_co_u32_e32 v0, vcc, v7, v5, vcc
	v_mov_b32_e32 v5, 0xff800000
	buffer_store_dword v0, off, s[0:3], s32 offset:236 ; 4-byte Folded Spill
	buffer_store_dword v24, off, s[0:3], s32 offset:172 ; 4-byte Folded Spill
	s_nop 0
	buffer_store_dword v25, off, s[0:3], s32 offset:176 ; 4-byte Folded Spill
	s_branch .LBB4_24
.LBB4_23:                               ;   in Loop: Header=BB4_24 Depth=1
	s_or_b64 exec, exec, s[16:17]
	buffer_load_dword v6, off, s[0:3], s32 offset:128 ; 4-byte Folded Reload
	buffer_load_dword v7, off, s[0:3], s32 offset:132 ; 4-byte Folded Reload
	v_add_co_u32_e32 v36, vcc, 1, v36
	v_addc_co_u32_e32 v37, vcc, 0, v37, vcc
	v_add_co_u32_e32 v28, vcc, v28, v24
	v_addc_co_u32_e32 v29, vcc, 0, v29, vcc
	s_waitcnt vmcnt(0)
	v_add_co_u32_e32 v6, vcc, v6, v24
	v_addc_co_u32_e32 v7, vcc, 0, v7, vcc
	v_cmp_ge_u64_e32 vcc, v[28:29], v[10:11]
	buffer_store_dword v6, off, s[0:3], s32 offset:128 ; 4-byte Folded Spill
	s_nop 0
	buffer_store_dword v7, off, s[0:3], s32 offset:132 ; 4-byte Folded Spill
	s_or_b64 s[28:29], vcc, s[28:29]
	s_andn2_b64 exec, exec, s[28:29]
	s_cbranch_execz .LBB4_788
.LBB4_24:                               ; =>This Loop Header: Depth=1
                                        ;     Child Loop BB4_29 Depth 2
                                        ;     Child Loop BB4_48 Depth 2
	;; [unrolled: 1-line block ×5, first 2 shown]
                                        ;       Child Loop BB4_78 Depth 3
                                        ;       Child Loop BB4_97 Depth 3
	;; [unrolled: 1-line block ×3, first 2 shown]
                                        ;         Child Loop BB4_126 Depth 4
                                        ;       Child Loop BB4_429 Depth 3
                                        ;       Child Loop BB4_114 Depth 3
                                        ;     Child Loop BB4_444 Depth 2
                                        ;       Child Loop BB4_452 Depth 3
                                        ;     Child Loop BB4_775 Depth 2
	buffer_load_dword v6, off, s[0:3], s32 offset:180 ; 4-byte Folded Reload
	buffer_load_dword v7, off, s[0:3], s32 offset:184 ; 4-byte Folded Reload
	s_waitcnt vmcnt(0) lgkmcnt(0)
	flat_load_dword v0, v[6:7]
	v_sub_co_u32_e32 v6, vcc, v10, v28
	v_subb_co_u32_e32 v7, vcc, v11, v29, vcc
	v_cmp_lt_u64_e32 vcc, v[24:25], v[6:7]
	v_cndmask_b32_e32 v4, v6, v24, vcc
	v_lshl_add_u32 v2, v4, 1, 14
	v_and_b32_e32 v2, 0x7fffff0, v2
	buffer_store_dword v2, off, s[0:3], s32 offset:120 ; 4-byte Folded Spill
	s_and_saveexec_b64 s[18:19], s[6:7]
	s_cbranch_execz .LBB4_40
; %bb.25:                               ;   in Loop: Header=BB4_24 Depth=1
	v_add_co_u32_e32 v18, vcc, 1, v16
	v_addc_co_u32_e32 v19, vcc, 0, v17, vcc
	v_add_co_u32_e32 v6, vcc, 8, v54
	v_addc_co_u32_e32 v7, vcc, 0, v55, vcc
	v_cmp_lt_u64_e32 vcc, v[6:7], v[18:19]
	s_and_saveexec_b64 s[62:63], vcc
	s_cbranch_execz .LBB4_37
; %bb.26:                               ;   in Loop: Header=BB4_24 Depth=1
	s_mov_b32 s26, 0
	v_cmp_eq_u32_e32 vcc, 0, v51
	s_mov_b64 s[72:73], 0
                                        ; implicit-def: $sgpr74_sgpr75
                                        ; implicit-def: $sgpr76_sgpr77
                                        ; implicit-def: $sgpr78_sgpr79
	s_branch .LBB4_29
.LBB4_27:                               ;   in Loop: Header=BB4_29 Depth=2
	s_or_b64 exec, exec, s[30:31]
	s_andn2_b64 s[16:17], s[78:79], exec
	s_and_b64 s[78:79], s[92:93], exec
	s_or_b64 s[78:79], s[16:17], s[78:79]
	s_andn2_b64 s[16:17], s[76:77], exec
	s_and_b64 s[76:77], s[90:91], exec
	v_mov_b32_e32 v6, 0
	s_or_b64 s[76:77], s[16:17], s[76:77]
.LBB4_28:                               ;   in Loop: Header=BB4_29 Depth=2
	s_or_b64 exec, exec, s[88:89]
	s_and_b64 s[16:17], exec, s[76:77]
	s_or_b64 s[72:73], s[16:17], s[72:73]
	s_andn2_b64 s[16:17], s[74:75], exec
	s_and_b64 s[74:75], s[78:79], exec
	s_or_b64 s[74:75], s[16:17], s[74:75]
	s_andn2_b64 exec, exec, s[72:73]
	s_cbranch_execz .LBB4_34
.LBB4_29:                               ;   Parent Loop BB4_24 Depth=1
                                        ; =>  This Inner Loop Header: Depth=2
	s_sleep 1
	s_waitcnt vmcnt(0) lgkmcnt(0)
	flat_load_dwordx2 v[54:55], v[52:53] glc
	s_or_b64 s[78:79], s[78:79], exec
	s_or_b64 s[76:77], s[76:77], exec
	v_mov_b32_e32 v6, v51
                                        ; implicit-def: $vgpr2
	s_and_saveexec_b64 s[88:89], vcc
	s_cbranch_execz .LBB4_28
; %bb.30:                               ;   in Loop: Header=BB4_29 Depth=2
	s_add_i32 s26, s26, 1
	s_cmpk_lg_i32 s26, 0x2710
	s_cselect_b64 s[94:95], -1, 0
	s_cmpk_eq_i32 s26, 0x2710
	s_mov_b64 s[90:91], -1
	s_mov_b64 s[92:93], -1
                                        ; implicit-def: $vgpr2
	s_cbranch_scc1 .LBB4_32
; %bb.31:                               ;   in Loop: Header=BB4_29 Depth=2
	s_and_saveexec_b64 s[30:31], s[94:95]
	s_cbranch_execz .LBB4_27
	s_branch .LBB4_33
.LBB4_32:                               ;   in Loop: Header=BB4_29 Depth=2
	s_trap 2
	s_waitcnt vmcnt(0) lgkmcnt(0)
	ds_read_b64 v[6:7], v0
	s_andn2_b64 s[94:95], s[94:95], exec
	s_mov_b32 s26, 0
	s_mov_b64 s[92:93], 0
	s_waitcnt lgkmcnt(0)
	flat_load_dword v2, v[6:7] glc
	s_waitcnt vmcnt(0) lgkmcnt(0)
	buffer_wbinvl1_vol
	v_cmp_eq_u32_e64 s[16:17], 0, v2
	s_and_b64 s[16:17], s[16:17], exec
	s_or_b64 s[94:95], s[94:95], s[16:17]
	s_and_saveexec_b64 s[30:31], s[94:95]
	s_cbranch_execz .LBB4_27
.LBB4_33:                               ;   in Loop: Header=BB4_29 Depth=2
	s_waitcnt vmcnt(0) lgkmcnt(0)
	v_add_co_u32_e64 v6, s[16:17], 8, v54
	v_addc_co_u32_e64 v7, s[16:17], 0, v55, s[16:17]
	v_cmp_ge_u64_e64 s[16:17], v[6:7], v[18:19]
	s_or_b64 s[92:93], s[92:93], exec
	s_orn2_b64 s[90:91], s[16:17], exec
	s_branch .LBB4_27
.LBB4_34:                               ;   in Loop: Header=BB4_24 Depth=1
	s_or_b64 exec, exec, s[72:73]
	s_xor_b64 s[16:17], s[74:75], -1
	s_and_saveexec_b64 s[72:73], s[16:17]
	s_xor_b64 s[16:17], exec, s[72:73]
	s_cbranch_execz .LBB4_36
; %bb.35:                               ;   in Loop: Header=BB4_24 Depth=1
	v_mov_b32_e32 v6, 1
	s_waitcnt vmcnt(0) lgkmcnt(0)
	ds_write_b32 v0, v2
	s_trap 2
.LBB4_36:                               ;   in Loop: Header=BB4_24 Depth=1
	s_or_b64 exec, exec, s[16:17]
	v_mov_b32_e32 v51, v6
.LBB4_37:                               ;   in Loop: Header=BB4_24 Depth=1
	s_or_b64 exec, exec, s[62:63]
	s_and_saveexec_b64 s[16:17], s[8:9]
	s_cbranch_execz .LBB4_39
; %bb.38:                               ;   in Loop: Header=BB4_24 Depth=1
	v_and_b32_e32 v2, 0x7ffffff8, v16
	v_cmp_eq_u64_e32 vcc, s[44:45], v[2:3]
	buffer_load_dword v2, off, s[0:3], s32 offset:120 ; 4-byte Folded Reload
	v_and_b32_e32 v6, 7, v16
	v_mad_u64_u32 v[6:7], s[62:63], v6, 24, v[14:15]
	v_mov_b32_e32 v10, s21
	s_waitcnt vmcnt(0)
	v_cndmask_b32_e32 v10, v2, v10, vcc
	v_ashrrev_i32_e32 v11, 31, v10
	flat_store_dwordx2 v[6:7], v[10:11] offset:8
	s_waitcnt vmcnt(0)
.LBB4_39:                               ;   in Loop: Header=BB4_24 Depth=1
	s_or_b64 exec, exec, s[16:17]
	v_mov_b32_e32 v16, v18
	v_mov_b32_e32 v17, v19
.LBB4_40:                               ;   in Loop: Header=BB4_24 Depth=1
	s_or_b64 exec, exec, s[18:19]
	s_and_saveexec_b64 s[16:17], s[10:11]
	s_cbranch_execz .LBB4_59
; %bb.41:                               ;   in Loop: Header=BB4_24 Depth=1
	s_and_saveexec_b64 s[18:19], s[40:41]
	s_xor_b64 s[18:19], exec, s[18:19]
	s_cbranch_execz .LBB4_56
; %bb.42:                               ;   in Loop: Header=BB4_24 Depth=1
	s_and_saveexec_b64 s[62:63], s[12:13]
	s_cbranch_execz .LBB4_55
; %bb.43:                               ;   in Loop: Header=BB4_24 Depth=1
	s_mov_b64 s[74:75], exec
	v_mbcnt_lo_u32_b32 v2, s74, 0
	v_mbcnt_hi_u32_b32 v2, s75, v2
	v_cmp_eq_u32_e32 vcc, 0, v2
	s_waitcnt vmcnt(0) lgkmcnt(0)
	buffer_wbinvl1_vol
	s_and_saveexec_b64 s[72:73], vcc
	s_cbranch_execz .LBB4_45
; %bb.44:                               ;   in Loop: Header=BB4_24 Depth=1
	s_bcnt1_i32_b64 s26, s[74:75]
	v_mov_b32_e32 v2, s26
	ds_add_u64 v0, v[2:3]
	s_trap 2
.LBB4_45:                               ;   in Loop: Header=BB4_24 Depth=1
	s_or_b64 exec, exec, s[72:73]
	s_trap 2
	ds_read_b64 v[6:7], v0
	s_waitcnt lgkmcnt(0)
	buffer_load_dword v2, off, s[0:3], s32 offset:124 ; 4-byte Folded Reload
	s_waitcnt vmcnt(0)
	v_add_co_u32_e32 v42, vcc, v42, v2
	v_addc_co_u32_e32 v43, vcc, 0, v43, vcc
	v_cmp_lt_u64_e32 vcc, v[6:7], v[42:43]
	s_and_saveexec_b64 s[72:73], vcc
	s_cbranch_execz .LBB4_54
; %bb.46:                               ;   in Loop: Header=BB4_24 Depth=1
	s_mov_b32 s26, 0
	s_mov_b64 s[74:75], 0
                                        ; implicit-def: $sgpr76_sgpr77
                                        ; implicit-def: $sgpr78_sgpr79
	s_branch .LBB4_48
.LBB4_47:                               ;   in Loop: Header=BB4_48 Depth=2
	s_or_b64 exec, exec, s[90:91]
	s_and_b64 s[88:89], exec, s[92:93]
	s_or_b64 s[74:75], s[88:89], s[74:75]
	s_andn2_b64 s[76:77], s[76:77], exec
	s_and_b64 s[88:89], s[78:79], exec
	s_or_b64 s[76:77], s[76:77], s[88:89]
	s_andn2_b64 exec, exec, s[74:75]
	s_cbranch_execz .LBB4_52
.LBB4_48:                               ;   Parent Loop BB4_24 Depth=1
                                        ; =>  This Inner Loop Header: Depth=2
	s_add_i32 s26, s26, 1
	s_cmpk_lg_i32 s26, 0x2710
	s_cselect_b64 s[88:89], -1, 0
	s_and_b64 vcc, exec, s[88:89]
	s_cbranch_vccz .LBB4_50
; %bb.49:                               ;   in Loop: Header=BB4_48 Depth=2
	s_mov_b64 s[92:93], -1
	s_or_b64 s[78:79], s[78:79], exec
	s_and_saveexec_b64 s[90:91], s[88:89]
	s_cbranch_execz .LBB4_47
	s_branch .LBB4_51
.LBB4_50:                               ;   in Loop: Header=BB4_48 Depth=2
	s_trap 2
	ds_read_b64 v[6:7], v0
	s_andn2_b64 s[88:89], s[88:89], exec
	s_mov_b32 s26, 0
	s_waitcnt lgkmcnt(0)
	flat_load_dword v2, v[6:7] glc
	s_waitcnt vmcnt(0) lgkmcnt(0)
	buffer_wbinvl1_vol
	v_cmp_eq_u32_e32 vcc, 0, v2
	s_and_b64 s[90:91], vcc, exec
	s_or_b64 s[88:89], s[88:89], s[90:91]
	s_mov_b64 s[92:93], -1
	s_or_b64 s[78:79], s[78:79], exec
	s_and_saveexec_b64 s[90:91], s[88:89]
	s_cbranch_execz .LBB4_47
.LBB4_51:                               ;   in Loop: Header=BB4_48 Depth=2
	s_sleep 1
	s_trap 2
	ds_read_b64 v[6:7], v0
	s_waitcnt lgkmcnt(0)
	s_andn2_b64 s[78:79], s[78:79], exec
	v_cmp_ge_u64_e32 vcc, v[6:7], v[42:43]
	s_orn2_b64 s[92:93], vcc, exec
	s_branch .LBB4_47
.LBB4_52:                               ;   in Loop: Header=BB4_24 Depth=1
	s_or_b64 exec, exec, s[74:75]
	s_and_saveexec_b64 s[74:75], s[76:77]
	s_xor_b64 s[74:75], exec, s[74:75]
	s_cbranch_execz .LBB4_54
; %bb.53:                               ;   in Loop: Header=BB4_24 Depth=1
	v_mov_b32_e32 v2, 1
	ds_write_b32 v0, v2
	s_trap 2
.LBB4_54:                               ;   in Loop: Header=BB4_24 Depth=1
	s_or_b64 exec, exec, s[72:73]
	;;#ASMSTART
	s_wakeup
	;;#ASMEND
.LBB4_55:                               ;   in Loop: Header=BB4_24 Depth=1
	s_or_b64 exec, exec, s[62:63]
.LBB4_56:                               ;   in Loop: Header=BB4_24 Depth=1
	s_andn2_saveexec_b64 s[18:19], s[18:19]
	s_cbranch_execz .LBB4_58
; %bb.57:                               ;   in Loop: Header=BB4_24 Depth=1
	s_waitcnt vmcnt(0) lgkmcnt(0)
	buffer_wbinvl1_vol
	s_barrier
.LBB4_58:                               ;   in Loop: Header=BB4_24 Depth=1
	s_or_b64 exec, exec, s[18:19]
.LBB4_59:                               ;   in Loop: Header=BB4_24 Depth=1
	s_or_b64 exec, exec, s[16:17]
	buffer_load_dword v2, off, s[0:3], s32 offset:144 ; 4-byte Folded Reload
	buffer_load_dword v32, off, s[0:3], s32 offset:60 ; 4-byte Folded Reload
	buffer_load_dword v33, off, s[0:3], s32 offset:64 ; 4-byte Folded Reload
	v_add_u32_e32 v19, 1, v22
	s_waitcnt vmcnt(0)
	v_sub_u32_e32 v7, v4, v2
	v_cmp_lt_i32_e64 s[16:17], 0, v7
	v_and_b32_e32 v4, 7, v22
	s_and_saveexec_b64 s[18:19], s[16:17]
	s_cbranch_execz .LBB4_67
; %bb.60:                               ;   in Loop: Header=BB4_24 Depth=1
	buffer_load_dword v11, off, s[0:3], s32 offset:88 ; 4-byte Folded Reload
	buffer_load_dword v20, off, s[0:3], s32 offset:128 ; 4-byte Folded Reload
	;; [unrolled: 1-line block ×4, first 2 shown]
	s_waitcnt lgkmcnt(0)
	v_ashrrev_i32_e32 v2, 31, v0
	v_mul_lo_u32 v10, v4, s36
	s_waitcnt vmcnt(3)
	v_mul_lo_u32 v2, v11, v2
	s_waitcnt vmcnt(1)
	v_mad_u64_u32 v[30:31], s[62:63], v11, v0, v[20:21]
	s_waitcnt vmcnt(0)
	v_mul_lo_u32 v6, v6, v0
	v_mul_lo_u32 v0, v11, v0
	v_ashrrev_i32_e32 v11, 31, v10
	v_lshlrev_b64 v[10:11], 4, v[10:11]
	v_add3_u32 v31, v6, v31, v2
	buffer_load_dword v2, off, s[0:3], s32 offset:232 ; 4-byte Folded Reload
	v_add_lshl_u32 v0, v20, v0, 3
	s_mov_b64 s[62:63], 0
	v_mov_b32_e32 v6, v7
	s_waitcnt vmcnt(0)
	v_add_co_u32_e32 v56, vcc, v2, v10
	buffer_load_dword v2, off, s[0:3], s32 offset:236 ; 4-byte Folded Reload
	buffer_load_dword v32, off, s[0:3], s32 offset:60 ; 4-byte Folded Reload
	;; [unrolled: 1-line block ×3, first 2 shown]
	s_waitcnt vmcnt(2)
	v_addc_co_u32_e32 v57, vcc, v2, v11, vcc
	s_branch .LBB4_62
.LBB4_61:                               ;   in Loop: Header=BB4_62 Depth=2
	s_or_b64 exec, exec, s[72:73]
	buffer_load_dword v2, off, s[0:3], s32 offset:84 ; 4-byte Folded Reload
	v_add_co_u32_e32 v30, vcc, v30, v13
	v_sub_u32_e32 v6, v6, v13
	v_addc_co_u32_e32 v31, vcc, 0, v31, vcc
	s_waitcnt vmcnt(1)
	v_alignbit_b32 v18, v24, v10, v0
	v_alignbit_b32 v20, v11, v24, v0
	v_mov_b32_e32 v21, v19
	v_cmp_gt_i32_e32 vcc, 1, v6
	global_store_dwordx4 v[56:57], v[18:21], off
	s_or_b64 s[62:63], vcc, s[62:63]
	v_add_co_u32_e32 v56, vcc, v56, v44
	v_add_u32_e32 v32, v32, v1
	v_addc_co_u32_e32 v57, vcc, v57, v45, vcc
	s_waitcnt vmcnt(1)
	v_add_u32_e32 v0, v0, v2
	s_andn2_b64 exec, exec, s[62:63]
	s_cbranch_execz .LBB4_66
.LBB4_62:                               ;   Parent Loop BB4_24 Depth=1
                                        ; =>  This Inner Loop Header: Depth=2
	v_and_b32_e32 v20, -4, v30
	v_mov_b32_e32 v21, v31
	global_load_dword v10, v[20:21], off glc slc
	v_min_u32_e32 v2, 8, v6
	v_and_b32_e32 v11, 3, v30
	v_add_u32_e32 v2, v11, v2
	v_cmp_lt_u32_e32 vcc, 4, v2
	v_mov_b32_e32 v11, 0
	v_mov_b32_e32 v24, 0
	s_and_saveexec_b64 s[72:73], vcc
	s_cbranch_execz .LBB4_64
; %bb.63:                               ;   in Loop: Header=BB4_62 Depth=2
	global_load_dword v24, v[20:21], off offset:4 glc slc
.LBB4_64:                               ;   in Loop: Header=BB4_62 Depth=2
	s_or_b64 exec, exec, s[72:73]
	v_cmp_lt_u64_e32 vcc, 8, v[2:3]
	s_and_saveexec_b64 s[72:73], vcc
	s_cbranch_execz .LBB4_61
; %bb.65:                               ;   in Loop: Header=BB4_62 Depth=2
	global_load_dword v11, v[20:21], off offset:8 glc slc
	s_branch .LBB4_61
.LBB4_66:                               ;   in Loop: Header=BB4_24 Depth=1
	s_or_b64 exec, exec, s[62:63]
.LBB4_67:                               ;   in Loop: Header=BB4_24 Depth=1
	s_or_b64 exec, exec, s[18:19]
	v_and_b32_e32 v2, 0x7ffffff8, v22
	v_cmp_eq_u64_e32 vcc, s[44:45], v[2:3]
	v_cmp_gt_i32_e64 s[18:19], s36, v32
	s_and_b64 s[18:19], vcc, s[18:19]
	s_and_saveexec_b64 s[62:63], s[18:19]
	s_cbranch_execz .LBB4_70
; %bb.68:                               ;   in Loop: Header=BB4_24 Depth=1
	v_mul_lo_u32 v10, v4, s36
	v_ashrrev_i32_e32 v33, 31, v32
	v_lshlrev_b64 v[20:21], 4, v[32:33]
	v_mov_b32_e32 v18, v3
	v_ashrrev_i32_e32 v11, 31, v10
	v_lshlrev_b64 v[10:11], 4, v[10:11]
	s_mov_b64 s[72:73], 0
	s_waitcnt lgkmcnt(0)
	v_add_co_u32_e32 v0, vcc, v20, v10
	v_addc_co_u32_e32 v2, vcc, v21, v11, vcc
	buffer_load_dword v10, off, s[0:3], s32 offset:76 ; 4-byte Folded Reload
	buffer_load_dword v11, off, s[0:3], s32 offset:80 ; 4-byte Folded Reload
	s_waitcnt vmcnt(1)
	v_add_co_u32_e32 v30, vcc, v10, v0
	s_waitcnt vmcnt(0)
	v_addc_co_u32_e32 v31, vcc, v11, v2, vcc
.LBB4_69:                               ;   Parent Loop BB4_24 Depth=1
                                        ; =>  This Inner Loop Header: Depth=2
	v_mov_b32_e32 v20, v18
	v_mov_b32_e32 v21, v19
	v_add_u32_e32 v32, v32, v1
	global_store_dwordx4 v[30:31], v[18:21], off
	v_add_co_u32_e32 v30, vcc, v30, v44
	v_cmp_le_i32_e64 s[18:19], s36, v32
	s_or_b64 s[72:73], s[18:19], s[72:73]
	v_addc_co_u32_e32 v31, vcc, v31, v45, vcc
	s_andn2_b64 exec, exec, s[72:73]
	s_cbranch_execnz .LBB4_69
.LBB4_70:                               ;   in Loop: Header=BB4_24 Depth=1
	s_or_b64 exec, exec, s[62:63]
	buffer_load_dword v10, off, s[0:3], s32 offset:164 ; 4-byte Folded Reload
	buffer_load_dword v11, off, s[0:3], s32 offset:168 ; 4-byte Folded Reload
	v_add_co_u32_e64 v56, s[18:19], 1, v22
	v_addc_co_u32_e64 v57, s[18:19], 0, v23, s[18:19]
	s_waitcnt vmcnt(0)
	v_add_co_u32_e32 v2, vcc, v28, v10
	buffer_store_dword v28, off, s[0:3], s32 offset:136 ; 4-byte Folded Spill
	s_nop 0
	buffer_store_dword v29, off, s[0:3], s32 offset:140 ; 4-byte Folded Spill
	v_addc_co_u32_e32 v4, vcc, v29, v11, vcc
	s_andn2_b64 vcc, exec, s[42:43]
	s_cbranch_vccnz .LBB4_440
; %bb.71:                               ;   in Loop: Header=BB4_24 Depth=1
	s_waitcnt lgkmcnt(0)
	buffer_load_dword v0, off, s[0:3], s32 offset:216 ; 4-byte Folded Reload
	s_mov_b32 s53, 2
	buffer_store_dword v2, off, s[0:3], s32 offset:188 ; 4-byte Folded Spill
	buffer_store_dword v4, off, s[0:3], s32 offset:192 ; 4-byte Folded Spill
	s_waitcnt vmcnt(2)
	v_add_co_u32_e32 v10, vcc, v0, v2
	buffer_load_dword v0, off, s[0:3], s32 offset:220 ; 4-byte Folded Reload
	s_waitcnt vmcnt(0)
	v_addc_co_u32_e32 v11, vcc, v0, v4, vcc
	buffer_store_dword v10, off, s[0:3], s32 offset:112 ; 4-byte Folded Spill
	s_nop 0
	buffer_store_dword v11, off, s[0:3], s32 offset:116 ; 4-byte Folded Spill
	v_add_u16_e32 v10, 1, v22
	s_branch .LBB4_73
.LBB4_72:                               ;   in Loop: Header=BB4_73 Depth=2
	s_or_b64 exec, exec, s[62:63]
	v_add_co_u32_e32 v36, vcc, 1, v36
	v_addc_co_u32_e32 v37, vcc, 0, v37, vcc
	s_add_i32 s53, s53, 1
	v_add_co_u32_e32 v56, vcc, 1, v56
	v_addc_co_u32_e32 v57, vcc, 0, v57, vcc
	s_cmp_eq_u32 s53, s20
	v_add_u16_e32 v10, 1, v10
	s_cbranch_scc1 .LBB4_441
.LBB4_73:                               ;   Parent Loop BB4_24 Depth=1
                                        ; =>  This Loop Header: Depth=2
                                        ;       Child Loop BB4_78 Depth 3
                                        ;       Child Loop BB4_97 Depth 3
	;; [unrolled: 1-line block ×3, first 2 shown]
                                        ;         Child Loop BB4_126 Depth 4
                                        ;       Child Loop BB4_429 Depth 3
                                        ;       Child Loop BB4_114 Depth 3
	buffer_load_dword v18, off, s[0:3], s32 offset:68 ; 4-byte Folded Reload
	buffer_load_dword v19, off, s[0:3], s32 offset:72 ; 4-byte Folded Reload
	s_sub_i32 s26, s20, s53
	s_lshl_b64 s[18:19], s[26:27], 2
	s_waitcnt lgkmcnt(0)
	v_mov_b32_e32 v0, s19
	s_waitcnt vmcnt(1)
	v_add_co_u32_e32 v18, vcc, s18, v18
	s_waitcnt vmcnt(0)
	v_addc_co_u32_e32 v19, vcc, v19, v0, vcc
	flat_load_dword v0, v[18:19]
	s_and_saveexec_b64 s[62:63], s[6:7]
	s_cbranch_execz .LBB4_89
; %bb.74:                               ;   in Loop: Header=BB4_73 Depth=2
	v_add_co_u32_e32 v18, vcc, 1, v16
	v_addc_co_u32_e32 v19, vcc, 0, v17, vcc
	v_add_co_u32_e32 v20, vcc, 8, v54
	v_addc_co_u32_e32 v21, vcc, 0, v55, vcc
	v_cmp_lt_u64_e32 vcc, v[20:21], v[18:19]
	s_and_saveexec_b64 s[72:73], vcc
	s_cbranch_execz .LBB4_86
; %bb.75:                               ;   in Loop: Header=BB4_73 Depth=2
	s_mov_b32 s26, 0
	v_cmp_eq_u32_e32 vcc, 0, v51
	s_mov_b64 s[74:75], 0
                                        ; implicit-def: $sgpr76_sgpr77
                                        ; implicit-def: $sgpr78_sgpr79
                                        ; implicit-def: $sgpr88_sgpr89
	s_branch .LBB4_78
.LBB4_76:                               ;   in Loop: Header=BB4_78 Depth=3
	s_or_b64 exec, exec, s[34:35]
	s_andn2_b64 s[18:19], s[88:89], exec
	s_and_b64 s[88:89], s[94:95], exec
	s_or_b64 s[88:89], s[18:19], s[88:89]
	s_andn2_b64 s[18:19], s[78:79], exec
	s_and_b64 s[78:79], s[92:93], exec
	v_mov_b32_e32 v4, 0
	s_or_b64 s[78:79], s[18:19], s[78:79]
.LBB4_77:                               ;   in Loop: Header=BB4_78 Depth=3
	s_or_b64 exec, exec, s[90:91]
	s_and_b64 s[18:19], exec, s[78:79]
	s_or_b64 s[74:75], s[18:19], s[74:75]
	s_andn2_b64 s[18:19], s[76:77], exec
	s_and_b64 s[76:77], s[88:89], exec
	s_or_b64 s[76:77], s[18:19], s[76:77]
	s_andn2_b64 exec, exec, s[74:75]
	s_cbranch_execz .LBB4_83
.LBB4_78:                               ;   Parent Loop BB4_24 Depth=1
                                        ;     Parent Loop BB4_73 Depth=2
                                        ; =>    This Inner Loop Header: Depth=3
	s_sleep 1
	s_waitcnt vmcnt(0) lgkmcnt(0)
	flat_load_dwordx2 v[54:55], v[52:53] glc
	s_or_b64 s[88:89], s[88:89], exec
	s_or_b64 s[78:79], s[78:79], exec
	v_mov_b32_e32 v4, v51
                                        ; implicit-def: $vgpr2
	s_and_saveexec_b64 s[90:91], vcc
	s_cbranch_execz .LBB4_77
; %bb.79:                               ;   in Loop: Header=BB4_78 Depth=3
	s_add_i32 s26, s26, 1
	s_cmpk_lg_i32 s26, 0x2710
	s_cselect_b64 s[30:31], -1, 0
	s_cmpk_eq_i32 s26, 0x2710
	s_mov_b64 s[92:93], -1
	s_mov_b64 s[94:95], -1
                                        ; implicit-def: $vgpr2
	s_cbranch_scc1 .LBB4_81
; %bb.80:                               ;   in Loop: Header=BB4_78 Depth=3
	s_and_saveexec_b64 s[34:35], s[30:31]
	s_cbranch_execz .LBB4_76
	s_branch .LBB4_82
.LBB4_81:                               ;   in Loop: Header=BB4_78 Depth=3
	s_trap 2
	s_waitcnt vmcnt(0) lgkmcnt(0)
	ds_read_b64 v[20:21], v0
	s_andn2_b64 s[30:31], s[30:31], exec
	s_mov_b32 s26, 0
	s_mov_b64 s[94:95], 0
	s_waitcnt lgkmcnt(0)
	flat_load_dword v2, v[20:21] glc
	s_waitcnt vmcnt(0) lgkmcnt(0)
	buffer_wbinvl1_vol
	v_cmp_eq_u32_e64 s[18:19], 0, v2
	s_and_b64 s[18:19], s[18:19], exec
	s_or_b64 s[30:31], s[30:31], s[18:19]
	s_and_saveexec_b64 s[34:35], s[30:31]
	s_cbranch_execz .LBB4_76
.LBB4_82:                               ;   in Loop: Header=BB4_78 Depth=3
	s_waitcnt vmcnt(0) lgkmcnt(0)
	v_add_co_u32_e64 v20, s[18:19], 8, v54
	v_addc_co_u32_e64 v21, s[18:19], 0, v55, s[18:19]
	v_cmp_ge_u64_e64 s[18:19], v[20:21], v[18:19]
	s_or_b64 s[94:95], s[94:95], exec
	s_orn2_b64 s[92:93], s[18:19], exec
	s_branch .LBB4_76
.LBB4_83:                               ;   in Loop: Header=BB4_73 Depth=2
	s_or_b64 exec, exec, s[74:75]
	s_xor_b64 s[18:19], s[76:77], -1
	s_and_saveexec_b64 s[74:75], s[18:19]
	s_xor_b64 s[18:19], exec, s[74:75]
	s_cbranch_execz .LBB4_85
; %bb.84:                               ;   in Loop: Header=BB4_73 Depth=2
	v_mov_b32_e32 v4, 1
	s_waitcnt vmcnt(0) lgkmcnt(0)
	ds_write_b32 v0, v2
	s_trap 2
.LBB4_85:                               ;   in Loop: Header=BB4_73 Depth=2
	s_or_b64 exec, exec, s[18:19]
	v_mov_b32_e32 v51, v4
.LBB4_86:                               ;   in Loop: Header=BB4_73 Depth=2
	s_or_b64 exec, exec, s[72:73]
	s_and_saveexec_b64 s[18:19], s[8:9]
	s_cbranch_execz .LBB4_88
; %bb.87:                               ;   in Loop: Header=BB4_73 Depth=2
	v_and_b32_e32 v2, 0x7ffffff8, v16
	v_cmp_eq_u64_e32 vcc, s[44:45], v[2:3]
	buffer_load_dword v2, off, s[0:3], s32 offset:120 ; 4-byte Folded Reload
	v_and_b32_e32 v4, 7, v16
	v_mad_u64_u32 v[16:17], s[72:73], v4, 24, v[14:15]
	v_mov_b32_e32 v4, s21
	s_waitcnt vmcnt(0)
	v_cndmask_b32_e32 v20, v2, v4, vcc
	v_ashrrev_i32_e32 v21, 31, v20
	flat_store_dwordx2 v[16:17], v[20:21] offset:8
	s_waitcnt vmcnt(0)
.LBB4_88:                               ;   in Loop: Header=BB4_73 Depth=2
	s_or_b64 exec, exec, s[18:19]
	v_mov_b32_e32 v16, v18
	v_mov_b32_e32 v17, v19
.LBB4_89:                               ;   in Loop: Header=BB4_73 Depth=2
	s_or_b64 exec, exec, s[62:63]
	s_and_saveexec_b64 s[18:19], s[10:11]
	s_cbranch_execz .LBB4_108
; %bb.90:                               ;   in Loop: Header=BB4_73 Depth=2
	s_and_saveexec_b64 s[62:63], s[40:41]
	s_xor_b64 s[62:63], exec, s[62:63]
	s_cbranch_execz .LBB4_105
; %bb.91:                               ;   in Loop: Header=BB4_73 Depth=2
	s_and_saveexec_b64 s[72:73], s[12:13]
	s_cbranch_execz .LBB4_104
; %bb.92:                               ;   in Loop: Header=BB4_73 Depth=2
	s_mov_b64 s[76:77], exec
	v_mbcnt_lo_u32_b32 v2, s76, 0
	v_mbcnt_hi_u32_b32 v2, s77, v2
	v_cmp_eq_u32_e32 vcc, 0, v2
	s_waitcnt vmcnt(0) lgkmcnt(0)
	buffer_wbinvl1_vol
	s_and_saveexec_b64 s[74:75], vcc
	s_cbranch_execz .LBB4_94
; %bb.93:                               ;   in Loop: Header=BB4_73 Depth=2
	s_bcnt1_i32_b64 s26, s[76:77]
	v_mov_b32_e32 v2, s26
	ds_add_u64 v0, v[2:3]
	s_trap 2
.LBB4_94:                               ;   in Loop: Header=BB4_73 Depth=2
	s_or_b64 exec, exec, s[74:75]
	s_trap 2
	ds_read_b64 v[18:19], v0
	s_waitcnt lgkmcnt(0)
	buffer_load_dword v2, off, s[0:3], s32 offset:124 ; 4-byte Folded Reload
	s_waitcnt vmcnt(0)
	v_add_co_u32_e32 v42, vcc, v42, v2
	v_addc_co_u32_e32 v43, vcc, 0, v43, vcc
	v_cmp_lt_u64_e32 vcc, v[18:19], v[42:43]
	s_and_saveexec_b64 s[74:75], vcc
	s_cbranch_execz .LBB4_103
; %bb.95:                               ;   in Loop: Header=BB4_73 Depth=2
	s_mov_b32 s26, 0
	s_mov_b64 s[76:77], 0
                                        ; implicit-def: $sgpr78_sgpr79
                                        ; implicit-def: $sgpr88_sgpr89
	s_branch .LBB4_97
.LBB4_96:                               ;   in Loop: Header=BB4_97 Depth=3
	s_or_b64 exec, exec, s[92:93]
	s_and_b64 s[90:91], exec, s[94:95]
	s_or_b64 s[76:77], s[90:91], s[76:77]
	s_andn2_b64 s[78:79], s[78:79], exec
	s_and_b64 s[90:91], s[88:89], exec
	s_or_b64 s[78:79], s[78:79], s[90:91]
	s_andn2_b64 exec, exec, s[76:77]
	s_cbranch_execz .LBB4_101
.LBB4_97:                               ;   Parent Loop BB4_24 Depth=1
                                        ;     Parent Loop BB4_73 Depth=2
                                        ; =>    This Inner Loop Header: Depth=3
	s_add_i32 s26, s26, 1
	s_cmpk_lg_i32 s26, 0x2710
	s_cselect_b64 s[90:91], -1, 0
	s_and_b64 vcc, exec, s[90:91]
	s_cbranch_vccz .LBB4_99
; %bb.98:                               ;   in Loop: Header=BB4_97 Depth=3
	s_mov_b64 s[94:95], -1
	s_or_b64 s[88:89], s[88:89], exec
	s_and_saveexec_b64 s[92:93], s[90:91]
	s_cbranch_execz .LBB4_96
	s_branch .LBB4_100
.LBB4_99:                               ;   in Loop: Header=BB4_97 Depth=3
	s_trap 2
	ds_read_b64 v[18:19], v0
	s_andn2_b64 s[90:91], s[90:91], exec
	s_mov_b32 s26, 0
	s_waitcnt lgkmcnt(0)
	flat_load_dword v2, v[18:19] glc
	s_waitcnt vmcnt(0) lgkmcnt(0)
	buffer_wbinvl1_vol
	v_cmp_eq_u32_e32 vcc, 0, v2
	s_and_b64 s[92:93], vcc, exec
	s_or_b64 s[90:91], s[90:91], s[92:93]
	s_mov_b64 s[94:95], -1
	s_or_b64 s[88:89], s[88:89], exec
	s_and_saveexec_b64 s[92:93], s[90:91]
	s_cbranch_execz .LBB4_96
.LBB4_100:                              ;   in Loop: Header=BB4_97 Depth=3
	s_sleep 1
	s_trap 2
	ds_read_b64 v[18:19], v0
	s_waitcnt lgkmcnt(0)
	s_andn2_b64 s[88:89], s[88:89], exec
	v_cmp_ge_u64_e32 vcc, v[18:19], v[42:43]
	s_orn2_b64 s[94:95], vcc, exec
	s_branch .LBB4_96
.LBB4_101:                              ;   in Loop: Header=BB4_73 Depth=2
	s_or_b64 exec, exec, s[76:77]
	s_and_saveexec_b64 s[76:77], s[78:79]
	s_xor_b64 s[76:77], exec, s[76:77]
	s_cbranch_execz .LBB4_103
; %bb.102:                              ;   in Loop: Header=BB4_73 Depth=2
	v_mov_b32_e32 v2, 1
	ds_write_b32 v0, v2
	s_trap 2
.LBB4_103:                              ;   in Loop: Header=BB4_73 Depth=2
	s_or_b64 exec, exec, s[74:75]
	;;#ASMSTART
	s_wakeup
	;;#ASMEND
.LBB4_104:                              ;   in Loop: Header=BB4_73 Depth=2
	s_or_b64 exec, exec, s[72:73]
.LBB4_105:                              ;   in Loop: Header=BB4_73 Depth=2
	s_andn2_saveexec_b64 s[62:63], s[62:63]
	s_cbranch_execz .LBB4_107
; %bb.106:                              ;   in Loop: Header=BB4_73 Depth=2
	s_waitcnt vmcnt(0) lgkmcnt(0)
	buffer_wbinvl1_vol
	s_barrier
.LBB4_107:                              ;   in Loop: Header=BB4_73 Depth=2
	s_or_b64 exec, exec, s[62:63]
.LBB4_108:                              ;   in Loop: Header=BB4_73 Depth=2
	s_or_b64 exec, exec, s[18:19]
	buffer_load_dword v60, off, s[0:3], s32 offset:60 ; 4-byte Folded Reload
	buffer_load_dword v61, off, s[0:3], s32 offset:64 ; 4-byte Folded Reload
	v_add_u32_e32 v19, 1, v56
	s_and_saveexec_b64 s[62:63], s[16:17]
	s_cbranch_execnz .LBB4_115
; %bb.109:                              ;   in Loop: Header=BB4_73 Depth=2
	s_or_b64 exec, exec, s[62:63]
	s_and_saveexec_b64 s[18:19], s[10:11]
	s_cbranch_execnz .LBB4_422
.LBB4_110:                              ;   in Loop: Header=BB4_73 Depth=2
	s_or_b64 exec, exec, s[18:19]
	s_and_saveexec_b64 s[18:19], s[14:15]
	s_cbranch_execz .LBB4_112
.LBB4_111:                              ;   in Loop: Header=BB4_73 Depth=2
	buffer_load_dword v20, off, s[0:3], s32 offset:96 ; 4-byte Folded Reload
	buffer_load_dword v21, off, s[0:3], s32 offset:100 ; 4-byte Folded Reload
	v_add_co_u32_e32 v48, vcc, 1, v48
	v_addc_co_u32_e32 v49, vcc, 0, v49, vcc
	s_waitcnt vmcnt(0)
	flat_store_dwordx2 v[20:21], v[48:49]
.LBB4_112:                              ;   in Loop: Header=BB4_73 Depth=2
	s_or_b64 exec, exec, s[18:19]
	v_and_b32_e32 v2, 0x7ffffff8, v56
	v_cmp_eq_u64_e32 vcc, s[44:45], v[2:3]
	s_waitcnt vmcnt(0)
	v_cmp_gt_i32_e64 s[18:19], s36, v60
	s_and_b64 s[18:19], vcc, s[18:19]
	s_and_saveexec_b64 s[62:63], s[18:19]
	s_cbranch_execz .LBB4_72
; %bb.113:                              ;   in Loop: Header=BB4_73 Depth=2
	s_waitcnt lgkmcnt(0)
	v_and_b32_e32 v0, 7, v10
	v_mul_lo_u32 v20, s36, v0
	v_ashrrev_i32_e32 v61, 31, v60
	v_lshlrev_b64 v[22:23], 4, v[60:61]
	v_mov_b32_e32 v18, v3
	v_ashrrev_i32_e32 v21, 31, v20
	v_lshlrev_b64 v[20:21], 4, v[20:21]
	s_mov_b64 s[72:73], 0
	v_add_co_u32_e32 v0, vcc, v22, v20
	v_addc_co_u32_e32 v2, vcc, v23, v21, vcc
	buffer_load_dword v20, off, s[0:3], s32 offset:76 ; 4-byte Folded Reload
	buffer_load_dword v21, off, s[0:3], s32 offset:80 ; 4-byte Folded Reload
	s_waitcnt vmcnt(1)
	v_add_co_u32_e32 v22, vcc, v20, v0
	s_waitcnt vmcnt(0)
	v_addc_co_u32_e32 v23, vcc, v21, v2, vcc
.LBB4_114:                              ;   Parent Loop BB4_24 Depth=1
                                        ;     Parent Loop BB4_73 Depth=2
                                        ; =>    This Inner Loop Header: Depth=3
	v_mov_b32_e32 v20, v18
	v_mov_b32_e32 v21, v19
	v_add_u32_e32 v60, v60, v1
	global_store_dwordx4 v[22:23], v[18:21], off
	v_add_co_u32_e32 v22, vcc, v22, v44
	v_cmp_le_i32_e64 s[18:19], s36, v60
	s_or_b64 s[72:73], s[18:19], s[72:73]
	v_addc_co_u32_e32 v23, vcc, v23, v45, vcc
	s_andn2_b64 exec, exec, s[72:73]
	s_cbranch_execnz .LBB4_114
	s_branch .LBB4_72
.LBB4_115:                              ;   in Loop: Header=BB4_73 Depth=2
	buffer_load_dword v4, off, s[0:3], s32 offset:88 ; 4-byte Folded Reload
	buffer_load_dword v20, off, s[0:3], s32 offset:112 ; 4-byte Folded Reload
	;; [unrolled: 1-line block ×6, first 2 shown]
	s_waitcnt vmcnt(0) lgkmcnt(0)
	v_ashrrev_i32_e32 v2, 31, v0
	v_add_u32_e32 v34, 1, v36
	s_mov_b64 s[72:73], 0
	v_mov_b32_e32 v47, v7
	v_mul_lo_u32 v2, v4, v2
	v_mad_u64_u32 v[32:33], s[18:19], v4, v0, v[20:21]
	v_mul_lo_u32 v0, v6, v0
	v_and_b32_e32 v4, 7, v36
	v_mul_lo_u32 v20, v4, s36
	v_add3_u32 v33, v0, v33, v2
	v_and_b32_e32 v0, 7, v56
	v_mul_lo_u32 v22, v0, s36
	v_ashrrev_i32_e32 v21, 31, v20
	v_lshlrev_b64 v[20:21], 4, v[20:21]
	v_add_co_u32_e32 v11, vcc, v23, v20
	v_ashrrev_i32_e32 v23, 31, v22
	v_addc_co_u32_e32 v26, vcc, v24, v21, vcc
	v_lshlrev_b64 v[20:21], 4, v[22:23]
	buffer_load_dword v22, off, s[0:3], s32 offset:76 ; 4-byte Folded Reload
	buffer_load_dword v23, off, s[0:3], s32 offset:80 ; 4-byte Folded Reload
	;; [unrolled: 1-line block ×4, first 2 shown]
	s_waitcnt vmcnt(3)
	v_add_co_u32_e32 v35, vcc, v22, v20
	s_waitcnt vmcnt(2)
	v_addc_co_u32_e32 v46, vcc, v23, v21, vcc
	s_branch .LBB4_118
.LBB4_116:                              ;   in Loop: Header=BB4_118 Depth=3
	s_or_b64 exec, exec, s[74:75]
.LBB4_117:                              ;   in Loop: Header=BB4_118 Depth=3
	s_or_b64 exec, exec, s[18:19]
	v_add_co_u32_e32 v32, vcc, v32, v13
	v_addc_co_u32_e32 v33, vcc, 0, v33, vcc
	v_lshlrev_b32_e32 v0, 8, v6
	v_lshlrev_b32_e32 v2, 16, v58
	v_add_co_u32_e32 v22, vcc, v35, v61
	v_or3_b32 v0, v0, v18, v2
	v_lshlrev_b32_e32 v6, 8, v23
	v_lshlrev_b32_e32 v18, 16, v24
	v_addc_co_u32_e32 v23, vcc, v46, v62, vcc
	v_sub_u32_e32 v47, v47, v13
	v_lshlrev_b32_e32 v2, 24, v30
	v_lshlrev_b32_e32 v20, 24, v20
	v_or3_b32 v4, v6, v4, v18
	v_cmp_gt_i32_e32 vcc, 1, v47
	v_or3_b32 v18, v0, v2, 0
	v_or3_b32 v20, v4, v20, 0
	v_mov_b32_e32 v21, v19
	s_or_b64 s[72:73], vcc, s[72:73]
	v_add_u32_e32 v60, v60, v1
	global_store_dwordx4 v[22:23], v[18:21], off
	s_andn2_b64 exec, exec, s[72:73]
	s_cbranch_execz .LBB4_421
.LBB4_118:                              ;   Parent Loop BB4_24 Depth=1
                                        ;     Parent Loop BB4_73 Depth=2
                                        ; =>    This Loop Header: Depth=3
                                        ;         Child Loop BB4_126 Depth 4
	v_and_b32_e32 v20, -4, v32
	v_mov_b32_e32 v21, v33
	global_load_dword v0, v[20:21], off glc slc
	v_min_u32_e32 v2, 8, v47
	v_and_b32_e32 v4, 3, v32
	v_add_u32_e32 v2, v4, v2
	v_cmp_lt_u32_e32 vcc, 4, v2
	v_mov_b32_e32 v59, 0
	v_mov_b32_e32 v4, 0
	s_and_saveexec_b64 s[18:19], vcc
	s_cbranch_execz .LBB4_120
; %bb.119:                              ;   in Loop: Header=BB4_118 Depth=3
	global_load_dword v4, v[20:21], off offset:4 glc slc
.LBB4_120:                              ;   in Loop: Header=BB4_118 Depth=3
	s_or_b64 exec, exec, s[18:19]
	v_cmp_lt_u64_e32 vcc, 8, v[2:3]
	s_and_saveexec_b64 s[18:19], vcc
	s_cbranch_execz .LBB4_122
; %bb.121:                              ;   in Loop: Header=BB4_118 Depth=3
	global_load_dword v59, v[20:21], off offset:8 glc slc
.LBB4_122:                              ;   in Loop: Header=BB4_118 Depth=3
	s_or_b64 exec, exec, s[18:19]
	s_waitcnt vmcnt(1)
	v_ashrrev_i32_e32 v61, 31, v60
	v_lshlrev_b64 v[61:62], 4, v[60:61]
	v_add_co_u32_e32 v30, vcc, v11, v61
	v_addc_co_u32_e32 v31, vcc, v26, v62, vcc
	global_load_dwordx4 v[20:23], v[30:31], off glc slc
	v_cmp_eq_u32_e32 vcc, 0, v51
	s_and_saveexec_b64 s[74:75], vcc
	s_cbranch_execz .LBB4_134
; %bb.123:                              ;   in Loop: Header=BB4_118 Depth=3
	s_waitcnt vmcnt(0)
	v_cmp_ne_u32_e32 vcc, v34, v21
	v_cmp_ne_u32_e64 s[18:19], v34, v23
	s_or_b64 s[18:19], vcc, s[18:19]
	v_mov_b32_e32 v51, 0
	s_and_saveexec_b64 s[76:77], s[18:19]
	s_cbranch_execz .LBB4_133
; %bb.124:                              ;   in Loop: Header=BB4_118 Depth=3
	s_mov_b32 s26, 1
	s_mov_b64 s[88:89], 0
                                        ; implicit-def: $sgpr78_sgpr79
                                        ; implicit-def: $sgpr90_sgpr91
	s_branch .LBB4_126
.LBB4_125:                              ;   in Loop: Header=BB4_126 Depth=4
	s_or_b64 exec, exec, s[94:95]
	s_and_b64 s[18:19], exec, s[18:19]
	s_or_b64 s[88:89], s[18:19], s[88:89]
	s_andn2_b64 s[18:19], s[78:79], exec
	s_and_b64 s[78:79], s[90:91], exec
	s_or_b64 s[78:79], s[18:19], s[78:79]
	s_andn2_b64 exec, exec, s[88:89]
	s_cbranch_execz .LBB4_130
.LBB4_126:                              ;   Parent Loop BB4_24 Depth=1
                                        ;     Parent Loop BB4_73 Depth=2
                                        ;       Parent Loop BB4_118 Depth=3
                                        ; =>      This Inner Loop Header: Depth=4
	global_load_dwordx4 v[20:23], v[30:31], off glc slc
	s_add_i32 s26, s26, 1
	s_mov_b64 s[18:19], -1
	s_cmpk_lg_i32 s26, 0x2710
	s_mov_b64 s[92:93], -1
                                        ; implicit-def: $vgpr2
	s_cbranch_scc0 .LBB4_128
; %bb.127:                              ;   in Loop: Header=BB4_126 Depth=4
	s_or_b64 s[90:91], s[90:91], exec
	s_and_saveexec_b64 s[94:95], s[92:93]
	s_cbranch_execz .LBB4_125
	s_branch .LBB4_129
.LBB4_128:                              ;   in Loop: Header=BB4_126 Depth=4
	s_trap 2
	ds_read_b64 v[24:25], v0
	s_mov_b32 s26, 0
	s_waitcnt vmcnt(0) lgkmcnt(0)
	flat_load_dword v2, v[24:25] glc
	s_waitcnt vmcnt(0) lgkmcnt(0)
	buffer_wbinvl1_vol
	v_cmp_eq_u32_e32 vcc, 0, v2
	s_orn2_b64 s[92:93], vcc, exec
	s_or_b64 s[90:91], s[90:91], exec
	s_and_saveexec_b64 s[94:95], s[92:93]
	s_cbranch_execz .LBB4_125
.LBB4_129:                              ;   in Loop: Header=BB4_126 Depth=4
	s_waitcnt vmcnt(0)
	v_cmp_eq_u32_e32 vcc, v34, v21
	v_cmp_eq_u32_e64 s[18:19], v34, v23
	s_and_b64 s[18:19], vcc, s[18:19]
	s_andn2_b64 s[90:91], s[90:91], exec
	s_orn2_b64 s[18:19], s[18:19], exec
	s_branch .LBB4_125
.LBB4_130:                              ;   in Loop: Header=BB4_118 Depth=3
	s_or_b64 exec, exec, s[88:89]
	v_mov_b32_e32 v51, 0
	s_and_saveexec_b64 s[18:19], s[78:79]
	s_xor_b64 s[18:19], exec, s[18:19]
	s_cbranch_execz .LBB4_132
; %bb.131:                              ;   in Loop: Header=BB4_118 Depth=3
	v_mov_b32_e32 v51, 1
	ds_write_b32 v0, v2
	s_trap 2
.LBB4_132:                              ;   in Loop: Header=BB4_118 Depth=3
	s_or_b64 exec, exec, s[18:19]
.LBB4_133:                              ;   in Loop: Header=BB4_118 Depth=3
	s_or_b64 exec, exec, s[76:77]
.LBB4_134:                              ;   in Loop: Header=BB4_118 Depth=3
	s_or_b64 exec, exec, s[74:75]
	s_waitcnt vmcnt(0)
	v_cmp_ne_u16_sdwa s[74:75], v20, v3 src0_sel:BYTE_0 src1_sel:DWORD
	v_mov_b32_e32 v6, 0
	v_mov_b32_e32 v18, 0
	s_and_saveexec_b64 s[18:19], s[74:75]
	s_cbranch_execz .LBB4_142
; %bb.135:                              ;   in Loop: Header=BB4_118 Depth=3
	v_cmp_ne_u16_sdwa s[76:77], sext(v20), s38 src0_sel:BYTE_0 src1_sel:DWORD
	v_bfrev_b32_e32 v18, 1
	s_and_saveexec_b64 s[74:75], s[76:77]
	s_cbranch_execz .LBB4_141
; %bb.136:                              ;   in Loop: Header=BB4_118 Depth=3
	v_and_b32_e32 v18, 0x7c, v20
	v_and_b32_e32 v2, 3, v20
	v_cmp_ne_u32_e32 vcc, s39, v18
                                        ; implicit-def: $vgpr18
	s_and_saveexec_b64 s[76:77], vcc
	s_xor_b64 s[76:77], exec, s[76:77]
	s_cbranch_execz .LBB4_138
; %bb.137:                              ;   in Loop: Header=BB4_118 Depth=3
	v_ffbh_u32_e32 v24, v2
	v_min_u32_e32 v28, 32, v24
	v_bfe_u32 v18, v20, 2, 5
	v_subrev_u32_e32 v24, 29, v28
	v_lshlrev_b64 v[24:25], v24, v[20:21]
	v_sub_u32_e32 v21, 30, v28
	v_cmp_eq_u32_e32 vcc, 0, v18
	v_cndmask_b32_e32 v18, v18, v21, vcc
	v_lshlrev_b32_e32 v21, 24, v20
	v_and_b32_e32 v24, 3, v24
	v_and_b32_e32 v21, 0x80000000, v21
	v_cndmask_b32_e32 v2, v2, v24, vcc
	v_lshl_add_u32 v18, v18, 23, v21
	v_lshl_or_b32 v2, v2, 21, v18
	v_add_u32_e32 v18, 0x38000000, v2
                                        ; implicit-def: $vgpr2
.LBB4_138:                              ;   in Loop: Header=BB4_118 Depth=3
	s_andn2_saveexec_b64 s[76:77], s[76:77]
; %bb.139:                              ;   in Loop: Header=BB4_118 Depth=3
	v_cmp_gt_i16_sdwa vcc, sext(v20), v27 src0_sel:BYTE_0 src1_sel:DWORD
	v_cndmask_b32_e32 v18, v5, v8, vcc
	v_cmp_eq_u32_e32 vcc, 0, v2
	v_cndmask_b32_e32 v18, v9, v18, vcc
; %bb.140:                              ;   in Loop: Header=BB4_118 Depth=3
	s_or_b64 exec, exec, s[76:77]
.LBB4_141:                              ;   in Loop: Header=BB4_118 Depth=3
	s_or_b64 exec, exec, s[74:75]
.LBB4_142:                              ;   in Loop: Header=BB4_118 Depth=3
	s_or_b64 exec, exec, s[18:19]
	v_lshlrev_b32_e32 v24, 3, v32
	v_alignbit_b32 v2, v4, v0, v24
	v_cmp_ne_u16_sdwa s[74:75], v2, v3 src0_sel:BYTE_0 src1_sel:DWORD
	s_and_saveexec_b64 s[18:19], s[74:75]
	s_cbranch_execz .LBB4_150
; %bb.143:                              ;   in Loop: Header=BB4_118 Depth=3
	v_cmp_ne_u16_sdwa s[76:77], sext(v2), s38 src0_sel:BYTE_0 src1_sel:DWORD
	v_bfrev_b32_e32 v6, 1
	s_and_saveexec_b64 s[74:75], s[76:77]
	s_cbranch_execz .LBB4_149
; %bb.144:                              ;   in Loop: Header=BB4_118 Depth=3
	v_and_b32_e32 v6, 0x7c, v2
	v_and_b32_e32 v0, 3, v2
	v_cmp_ne_u32_e32 vcc, s39, v6
                                        ; implicit-def: $vgpr6
	s_and_saveexec_b64 s[76:77], vcc
	s_xor_b64 s[76:77], exec, s[76:77]
	s_cbranch_execz .LBB4_146
; %bb.145:                              ;   in Loop: Header=BB4_118 Depth=3
	v_ffbh_u32_e32 v21, v0
	v_min_u32_e32 v21, 32, v21
	v_bfe_u32 v6, v2, 2, 5
	v_subrev_u32_e32 v25, 29, v21
	v_lshlrev_b64 v[28:29], v25, v[2:3]
	v_sub_u32_e32 v21, 30, v21
	v_cmp_eq_u32_e32 vcc, 0, v6
	v_cndmask_b32_e32 v6, v6, v21, vcc
	v_lshlrev_b32_e32 v21, 24, v2
	v_and_b32_e32 v25, 3, v28
	v_and_b32_e32 v21, 0x80000000, v21
	v_cndmask_b32_e32 v0, v0, v25, vcc
	v_lshl_add_u32 v6, v6, 23, v21
	v_lshl_or_b32 v0, v0, 21, v6
	v_add_u32_e32 v6, 0x38000000, v0
                                        ; implicit-def: $vgpr0
.LBB4_146:                              ;   in Loop: Header=BB4_118 Depth=3
	s_andn2_saveexec_b64 s[76:77], s[76:77]
; %bb.147:                              ;   in Loop: Header=BB4_118 Depth=3
	v_cmp_gt_i16_sdwa vcc, sext(v2), v27 src0_sel:BYTE_0 src1_sel:DWORD
	v_cndmask_b32_e32 v6, v5, v8, vcc
	v_cmp_eq_u32_e32 vcc, 0, v0
	v_cndmask_b32_e32 v6, v9, v6, vcc
; %bb.148:                              ;   in Loop: Header=BB4_118 Depth=3
	s_or_b64 exec, exec, s[76:77]
.LBB4_149:                              ;   in Loop: Header=BB4_118 Depth=3
	s_or_b64 exec, exec, s[74:75]
.LBB4_150:                              ;   in Loop: Header=BB4_118 Depth=3
	s_or_b64 exec, exec, s[18:19]
	v_mul_f32_e32 v6, v18, v6
	v_and_b32_e32 v28, 0x7f800000, v6
	v_mov_b32_e32 v29, v3
	v_cmp_ne_u64_e32 vcc, s[56:57], v[28:29]
	v_and_b32_e32 v30, 0x7fffff, v6
	v_mov_b32_e32 v31, v3
                                        ; implicit-def: $vgpr18
	s_and_saveexec_b64 s[18:19], vcc
	s_xor_b64 s[74:75], exec, s[18:19]
	s_cbranch_execz .LBB4_164
; %bb.151:                              ;   in Loop: Header=BB4_118 Depth=3
	v_and_b32_e32 v28, 0x7fffffff, v6
	v_mov_b32_e32 v29, v3
	v_cmp_gt_u64_e32 vcc, s[58:59], v[28:29]
	v_and_b32_sdwa v0, v6, s48 dst_sel:DWORD dst_unused:UNUSED_PAD src0_sel:BYTE_3 src1_sel:DWORD
                                        ; implicit-def: $vgpr18
	s_and_saveexec_b64 s[18:19], vcc
	s_xor_b64 s[76:77], exec, s[18:19]
	s_cbranch_execz .LBB4_161
; %bb.152:                              ;   in Loop: Header=BB4_118 Depth=3
	v_mov_b32_e32 v18, 0
	v_cmp_ne_u32_e32 vcc, 0, v6
	s_and_saveexec_b64 s[78:79], vcc
	s_cbranch_execz .LBB4_160
; %bb.153:                              ;   in Loop: Header=BB4_118 Depth=3
	v_bfe_u32 v6, v6, 23, 8
	v_cmp_gt_u32_e64 s[18:19], s49, v6
	v_sub_u32_e32 v18, 0x71, v6
	v_cmp_eq_u32_e32 vcc, 0, v6
	v_cndmask_b32_e64 v18, 0, v18, s[18:19]
	v_or_b32_e32 v21, 0x800000, v30
	v_cndmask_b32_e32 v18, v18, v40, vcc
	v_cndmask_b32_e32 v30, v21, v30, vcc
	v_add_u32_e32 v21, 21, v18
	v_lshlrev_b64 v[28:29], v21, -1
	v_add_u32_e32 v21, 20, v18
	v_lshlrev_b64 v[38:39], v21, 1
	v_bfi_b32 v29, v29, 0, 0
	v_bfi_b32 v28, v28, 0, v30
	v_lshrrev_b64 v[30:31], v18, v[30:31]
	v_cmp_eq_u64_e64 s[18:19], v[28:29], v[38:39]
	v_mov_b32_e32 v28, v30
	v_mov_b32_e32 v29, v31
	s_and_saveexec_b64 s[88:89], s[18:19]
; %bb.154:                              ;   in Loop: Header=BB4_118 Depth=3
	v_bfe_u32 v21, v30, 21, 1
	v_add_co_u32_e64 v21, s[18:19], v30, v21
	v_add_co_u32_e64 v28, s[18:19], -1, v21
; %bb.155:                              ;   in Loop: Header=BB4_118 Depth=3
	s_or_b64 exec, exec, s[88:89]
	v_add_u32_e32 v6, 0xffffff81, v6
	v_cndmask_b32_e32 v6, v6, v41, vcc
	v_lshrrev_b32_e32 v21, 23, v30
	v_add3_u32 v21, v18, v6, v21
	v_add_u32_e32 v18, 14, v21
	v_and_b32_e32 v6, 0x1fffff, v28
	v_add_u32_e32 v30, v6, v30
	v_mov_b32_e32 v31, v3
	v_cmp_ne_u32_e32 vcc, 0, v18
                                        ; implicit-def: $vgpr6
	s_and_saveexec_b64 s[18:19], vcc
	s_xor_b64 s[18:19], exec, s[18:19]
; %bb.156:                              ;   in Loop: Header=BB4_118 Depth=3
	v_cmp_lt_u64_e32 vcc, s[60:61], v[30:31]
	v_add_u32_e32 v6, 15, v21
	v_cndmask_b32_e32 v6, v18, v6, vcc
	v_cndmask_b32_e64 v18, 0, 1, vcc
	v_lshrrev_b64 v[30:31], v18, v[30:31]
; %bb.157:                              ;   in Loop: Header=BB4_118 Depth=3
	s_andn2_saveexec_b64 s[18:19], s[18:19]
; %bb.158:                              ;   in Loop: Header=BB4_118 Depth=3
	v_bfe_u32 v6, v30, 23, 1
; %bb.159:                              ;   in Loop: Header=BB4_118 Depth=3
	s_or_b64 exec, exec, s[18:19]
	v_lshrrev_b64 v[28:29], 21, v[30:31]
	v_cmp_gt_i32_e32 vcc, 32, v6
	v_cndmask_b32_e32 v29, 0, v29, vcc
	v_cndmask_b32_e32 v28, 3, v28, vcc
	v_cmp_eq_u32_e32 vcc, 0, v6
	v_min_i32_e32 v6, 31, v6
	v_cmp_eq_u64_e64 s[18:19], 0, v[28:29]
	v_lshlrev_b32_e32 v6, 2, v6
	v_and_b32_e32 v6, 0xfc, v6
	v_and_or_b32 v6, v28, 3, v6
	s_and_b64 s[18:19], vcc, s[18:19]
	v_cndmask_b32_e64 v6, v6, 0, s[18:19]
	v_or_b32_e32 v18, v6, v0
.LBB4_160:                              ;   in Loop: Header=BB4_118 Depth=3
	s_or_b64 exec, exec, s[78:79]
                                        ; implicit-def: $vgpr0
.LBB4_161:                              ;   in Loop: Header=BB4_118 Depth=3
	s_andn2_saveexec_b64 s[18:19], s[76:77]
; %bb.162:                              ;   in Loop: Header=BB4_118 Depth=3
	v_or_b32_e32 v18, 0x7b, v0
; %bb.163:                              ;   in Loop: Header=BB4_118 Depth=3
	s_or_b64 exec, exec, s[18:19]
                                        ; implicit-def: $vgpr6
                                        ; implicit-def: $vgpr30_vgpr31
.LBB4_164:                              ;   in Loop: Header=BB4_118 Depth=3
	s_andn2_saveexec_b64 s[18:19], s[74:75]
	s_cbranch_execz .LBB4_170
; %bb.165:                              ;   in Loop: Header=BB4_118 Depth=3
	v_cmp_ne_u64_e32 vcc, 0, v[30:31]
                                        ; implicit-def: $vgpr18
	s_and_saveexec_b64 s[74:75], vcc
	s_xor_b64 s[74:75], exec, s[74:75]
; %bb.166:                              ;   in Loop: Header=BB4_118 Depth=3
	v_or_b32_sdwa v18, v6, s50 dst_sel:DWORD dst_unused:UNUSED_PAD src0_sel:BYTE_3 src1_sel:DWORD
                                        ; implicit-def: $vgpr6
; %bb.167:                              ;   in Loop: Header=BB4_118 Depth=3
	s_andn2_saveexec_b64 s[74:75], s[74:75]
; %bb.168:                              ;   in Loop: Header=BB4_118 Depth=3
	v_cmp_lt_i32_e32 vcc, -1, v6
	v_cndmask_b32_e32 v18, v12, v50, vcc
; %bb.169:                              ;   in Loop: Header=BB4_118 Depth=3
	s_or_b64 exec, exec, s[74:75]
.LBB4_170:                              ;   in Loop: Header=BB4_118 Depth=3
	s_or_b64 exec, exec, s[18:19]
	v_lshrrev_b16_e32 v30, 8, v20
	v_cmp_ne_u16_e32 vcc, 0, v30
	v_mov_b32_e32 v0, 0
	v_mov_b32_e32 v6, 0
	s_and_saveexec_b64 s[18:19], vcc
	s_cbranch_execz .LBB4_178
; %bb.171:                              ;   in Loop: Header=BB4_118 Depth=3
	v_cmp_ne_u16_e32 vcc, s48, v30
	v_bfrev_b32_e32 v6, 1
	s_and_saveexec_b64 s[74:75], vcc
	s_cbranch_execz .LBB4_177
; %bb.172:                              ;   in Loop: Header=BB4_118 Depth=3
	v_and_b32_e32 v6, 0x7c, v30
	v_and_b32_e32 v21, 3, v30
	v_cmp_ne_u32_e32 vcc, s39, v6
                                        ; implicit-def: $vgpr6
	s_and_saveexec_b64 s[76:77], vcc
	s_xor_b64 s[76:77], exec, s[76:77]
	s_cbranch_execz .LBB4_174
; %bb.173:                              ;   in Loop: Header=BB4_118 Depth=3
	v_ffbh_u32_e32 v25, v21
	v_min_u32_e32 v25, 32, v25
	v_mov_b32_e32 v31, v3
	v_bfe_u32 v6, v30, 2, 5
	v_subrev_u32_e32 v28, 29, v25
	v_lshlrev_b64 v[28:29], v28, v[30:31]
	v_sub_u32_e32 v25, 30, v25
	v_cmp_eq_u32_e32 vcc, 0, v6
	v_cndmask_b32_e32 v6, v6, v25, vcc
	v_lshlrev_b32_e32 v25, 16, v20
	v_and_b32_e32 v28, 3, v28
	v_and_b32_e32 v25, 0x80000000, v25
	v_cndmask_b32_e32 v21, v21, v28, vcc
	v_lshl_add_u32 v6, v6, 23, v25
	v_lshl_or_b32 v6, v21, 21, v6
	v_add_u32_e32 v6, 0x38000000, v6
                                        ; implicit-def: $vgpr21
.LBB4_174:                              ;   in Loop: Header=BB4_118 Depth=3
	s_andn2_saveexec_b64 s[76:77], s[76:77]
; %bb.175:                              ;   in Loop: Header=BB4_118 Depth=3
	v_cmp_lt_i16_e32 vcc, -1, v20
	v_cndmask_b32_e32 v6, v5, v8, vcc
	v_cmp_eq_u32_e32 vcc, 0, v21
	v_cndmask_b32_e32 v6, v9, v6, vcc
; %bb.176:                              ;   in Loop: Header=BB4_118 Depth=3
	s_or_b64 exec, exec, s[76:77]
.LBB4_177:                              ;   in Loop: Header=BB4_118 Depth=3
	s_or_b64 exec, exec, s[74:75]
.LBB4_178:                              ;   in Loop: Header=BB4_118 Depth=3
	s_or_b64 exec, exec, s[18:19]
	v_lshrrev_b16_e32 v30, 8, v2
	v_cmp_ne_u16_e32 vcc, 0, v30
	s_and_saveexec_b64 s[18:19], vcc
	s_cbranch_execz .LBB4_186
; %bb.179:                              ;   in Loop: Header=BB4_118 Depth=3
	v_cmp_ne_u16_e32 vcc, s48, v30
	v_bfrev_b32_e32 v0, 1
	s_and_saveexec_b64 s[74:75], vcc
	s_cbranch_execz .LBB4_185
; %bb.180:                              ;   in Loop: Header=BB4_118 Depth=3
	v_and_b32_e32 v0, 0x7c, v30
	v_and_b32_e32 v21, 3, v30
	v_cmp_ne_u32_e32 vcc, s39, v0
                                        ; implicit-def: $vgpr0
	s_and_saveexec_b64 s[76:77], vcc
	s_xor_b64 s[76:77], exec, s[76:77]
	s_cbranch_execz .LBB4_182
; %bb.181:                              ;   in Loop: Header=BB4_118 Depth=3
	v_ffbh_u32_e32 v25, v21
	v_min_u32_e32 v25, 32, v25
	v_mov_b32_e32 v31, v3
	v_bfe_u32 v0, v30, 2, 5
	v_subrev_u32_e32 v28, 29, v25
	v_lshlrev_b64 v[28:29], v28, v[30:31]
	v_sub_u32_e32 v25, 30, v25
	v_cmp_eq_u32_e32 vcc, 0, v0
	v_cndmask_b32_e32 v0, v0, v25, vcc
	v_lshlrev_b32_e32 v25, 16, v2
	v_and_b32_e32 v28, 3, v28
	v_and_b32_e32 v25, 0x80000000, v25
	v_cndmask_b32_e32 v21, v21, v28, vcc
	v_lshl_add_u32 v0, v0, 23, v25
	v_lshl_or_b32 v0, v21, 21, v0
	v_add_u32_e32 v0, 0x38000000, v0
                                        ; implicit-def: $vgpr21
.LBB4_182:                              ;   in Loop: Header=BB4_118 Depth=3
	s_andn2_saveexec_b64 s[76:77], s[76:77]
; %bb.183:                              ;   in Loop: Header=BB4_118 Depth=3
	v_cmp_lt_i16_e32 vcc, -1, v2
	v_cndmask_b32_e32 v0, v5, v8, vcc
	v_cmp_eq_u32_e32 vcc, 0, v21
	v_cndmask_b32_e32 v0, v9, v0, vcc
; %bb.184:                              ;   in Loop: Header=BB4_118 Depth=3
	s_or_b64 exec, exec, s[76:77]
.LBB4_185:                              ;   in Loop: Header=BB4_118 Depth=3
	s_or_b64 exec, exec, s[74:75]
.LBB4_186:                              ;   in Loop: Header=BB4_118 Depth=3
	s_or_b64 exec, exec, s[18:19]
	v_mul_f32_e32 v21, v6, v0
	v_and_b32_e32 v28, 0x7f800000, v21
	v_mov_b32_e32 v29, v3
	v_cmp_ne_u64_e32 vcc, s[56:57], v[28:29]
	v_and_b32_e32 v30, 0x7fffff, v21
	v_mov_b32_e32 v31, v3
                                        ; implicit-def: $vgpr6
	s_and_saveexec_b64 s[18:19], vcc
	s_xor_b64 s[74:75], exec, s[18:19]
	s_cbranch_execz .LBB4_200
; %bb.187:                              ;   in Loop: Header=BB4_118 Depth=3
	v_and_b32_e32 v28, 0x7fffffff, v21
	v_mov_b32_e32 v29, v3
	v_cmp_gt_u64_e32 vcc, s[58:59], v[28:29]
	v_and_b32_sdwa v0, v21, s48 dst_sel:DWORD dst_unused:UNUSED_PAD src0_sel:BYTE_3 src1_sel:DWORD
                                        ; implicit-def: $vgpr6
	s_and_saveexec_b64 s[18:19], vcc
	s_xor_b64 s[76:77], exec, s[18:19]
	s_cbranch_execz .LBB4_197
; %bb.188:                              ;   in Loop: Header=BB4_118 Depth=3
	v_mov_b32_e32 v6, 0
	v_cmp_ne_u32_e32 vcc, 0, v21
	s_and_saveexec_b64 s[78:79], vcc
	s_cbranch_execz .LBB4_196
; %bb.189:                              ;   in Loop: Header=BB4_118 Depth=3
	v_bfe_u32 v6, v21, 23, 8
	v_cmp_gt_u32_e64 s[18:19], s49, v6
	v_sub_u32_e32 v21, 0x71, v6
	v_cmp_eq_u32_e32 vcc, 0, v6
	v_cndmask_b32_e64 v21, 0, v21, s[18:19]
	v_or_b32_e32 v25, 0x800000, v30
	v_cndmask_b32_e32 v21, v21, v40, vcc
	v_cndmask_b32_e32 v30, v25, v30, vcc
	v_add_u32_e32 v25, 21, v21
	v_lshlrev_b64 v[28:29], v25, -1
	v_add_u32_e32 v25, 20, v21
	v_lshlrev_b64 v[38:39], v25, 1
	v_bfi_b32 v29, v29, 0, 0
	v_bfi_b32 v28, v28, 0, v30
	v_lshrrev_b64 v[30:31], v21, v[30:31]
	v_cmp_eq_u64_e64 s[18:19], v[28:29], v[38:39]
	v_mov_b32_e32 v28, v30
	v_mov_b32_e32 v29, v31
	s_and_saveexec_b64 s[88:89], s[18:19]
; %bb.190:                              ;   in Loop: Header=BB4_118 Depth=3
	v_bfe_u32 v25, v30, 21, 1
	v_add_co_u32_e64 v25, s[18:19], v30, v25
	v_add_co_u32_e64 v28, s[18:19], -1, v25
; %bb.191:                              ;   in Loop: Header=BB4_118 Depth=3
	s_or_b64 exec, exec, s[88:89]
	v_add_u32_e32 v6, 0xffffff81, v6
	v_cndmask_b32_e32 v6, v6, v41, vcc
	v_lshrrev_b32_e32 v25, 23, v30
	v_add3_u32 v25, v21, v6, v25
	v_add_u32_e32 v21, 14, v25
	v_and_b32_e32 v6, 0x1fffff, v28
	v_add_u32_e32 v30, v6, v30
	v_mov_b32_e32 v31, v3
	v_cmp_ne_u32_e32 vcc, 0, v21
                                        ; implicit-def: $vgpr6
	s_and_saveexec_b64 s[18:19], vcc
	s_xor_b64 s[18:19], exec, s[18:19]
; %bb.192:                              ;   in Loop: Header=BB4_118 Depth=3
	v_cmp_lt_u64_e32 vcc, s[60:61], v[30:31]
	v_add_u32_e32 v6, 15, v25
	v_cndmask_b32_e32 v6, v21, v6, vcc
	v_cndmask_b32_e64 v21, 0, 1, vcc
	v_lshrrev_b64 v[30:31], v21, v[30:31]
; %bb.193:                              ;   in Loop: Header=BB4_118 Depth=3
	s_andn2_saveexec_b64 s[18:19], s[18:19]
; %bb.194:                              ;   in Loop: Header=BB4_118 Depth=3
	v_bfe_u32 v6, v30, 23, 1
; %bb.195:                              ;   in Loop: Header=BB4_118 Depth=3
	s_or_b64 exec, exec, s[18:19]
	v_lshrrev_b64 v[28:29], 21, v[30:31]
	v_cmp_gt_i32_e32 vcc, 32, v6
	v_cndmask_b32_e32 v29, 0, v29, vcc
	v_cndmask_b32_e32 v28, 3, v28, vcc
	v_cmp_eq_u32_e32 vcc, 0, v6
	v_min_i32_e32 v6, 31, v6
	v_cmp_eq_u64_e64 s[18:19], 0, v[28:29]
	v_lshlrev_b32_e32 v6, 2, v6
	v_and_b32_e32 v6, 0xfc, v6
	v_and_or_b32 v6, v28, 3, v6
	s_and_b64 s[18:19], vcc, s[18:19]
	v_cndmask_b32_e64 v6, v6, 0, s[18:19]
	v_or_b32_e32 v6, v6, v0
.LBB4_196:                              ;   in Loop: Header=BB4_118 Depth=3
	s_or_b64 exec, exec, s[78:79]
                                        ; implicit-def: $vgpr0
.LBB4_197:                              ;   in Loop: Header=BB4_118 Depth=3
	s_andn2_saveexec_b64 s[18:19], s[76:77]
; %bb.198:                              ;   in Loop: Header=BB4_118 Depth=3
	v_or_b32_e32 v6, 0x7b, v0
; %bb.199:                              ;   in Loop: Header=BB4_118 Depth=3
	s_or_b64 exec, exec, s[18:19]
                                        ; implicit-def: $vgpr21
                                        ; implicit-def: $vgpr30_vgpr31
.LBB4_200:                              ;   in Loop: Header=BB4_118 Depth=3
	s_andn2_saveexec_b64 s[18:19], s[74:75]
	s_cbranch_execz .LBB4_206
; %bb.201:                              ;   in Loop: Header=BB4_118 Depth=3
	v_cmp_ne_u64_e32 vcc, 0, v[30:31]
                                        ; implicit-def: $vgpr6
	s_and_saveexec_b64 s[74:75], vcc
	s_xor_b64 s[74:75], exec, s[74:75]
; %bb.202:                              ;   in Loop: Header=BB4_118 Depth=3
	v_or_b32_sdwa v6, v21, s50 dst_sel:DWORD dst_unused:UNUSED_PAD src0_sel:BYTE_3 src1_sel:DWORD
                                        ; implicit-def: $vgpr21
; %bb.203:                              ;   in Loop: Header=BB4_118 Depth=3
	s_andn2_saveexec_b64 s[74:75], s[74:75]
; %bb.204:                              ;   in Loop: Header=BB4_118 Depth=3
	v_cmp_lt_i32_e32 vcc, -1, v21
	v_cndmask_b32_e32 v6, v12, v50, vcc
; %bb.205:                              ;   in Loop: Header=BB4_118 Depth=3
	s_or_b64 exec, exec, s[74:75]
.LBB4_206:                              ;   in Loop: Header=BB4_118 Depth=3
	s_or_b64 exec, exec, s[18:19]
	v_lshrrev_b32_e32 v0, 16, v20
	v_cmp_ne_u16_sdwa s[74:75], v0, v3 src0_sel:BYTE_0 src1_sel:DWORD
	v_mov_b32_e32 v25, 0
	v_mov_b32_e32 v21, 0
	s_and_saveexec_b64 s[18:19], s[74:75]
	s_cbranch_execz .LBB4_214
; %bb.207:                              ;   in Loop: Header=BB4_118 Depth=3
	v_cmp_ne_u16_sdwa s[76:77], v0, s48 src0_sel:BYTE_0 src1_sel:DWORD
	v_bfrev_b32_e32 v21, 1
	s_and_saveexec_b64 s[74:75], s[76:77]
	s_cbranch_execz .LBB4_213
; %bb.208:                              ;   in Loop: Header=BB4_118 Depth=3
	v_and_b32_e32 v21, 0x7c0000, v20
	v_bfe_u32 v28, v20, 16, 2
	v_cmp_ne_u32_e32 vcc, s51, v21
                                        ; implicit-def: $vgpr21
	s_and_saveexec_b64 s[76:77], vcc
	s_xor_b64 s[76:77], exec, s[76:77]
	s_cbranch_execz .LBB4_210
; %bb.209:                              ;   in Loop: Header=BB4_118 Depth=3
	v_ffbh_u32_e32 v29, v28
	v_min_u32_e32 v31, 32, v29
	v_subrev_u32_e32 v29, 29, v31
	v_lshlrev_b64 v[29:30], v29, v[0:1]
	v_bfe_u32 v21, v20, 18, 5
	v_sub_u32_e32 v0, 30, v31
	v_and_b32_e32 v29, 3, v29
	v_cmp_eq_u32_e32 vcc, 0, v21
	v_cndmask_b32_e32 v0, v21, v0, vcc
	v_cndmask_b32_e32 v21, v28, v29, vcc
	v_lshlrev_b32_e32 v28, 8, v20
	v_and_b32_e32 v28, 0x80000000, v28
	v_lshl_add_u32 v0, v0, 23, v28
	v_lshl_or_b32 v0, v21, 21, v0
	v_add_u32_e32 v21, 0x38000000, v0
                                        ; implicit-def: $vgpr28
                                        ; implicit-def: $vgpr0
.LBB4_210:                              ;   in Loop: Header=BB4_118 Depth=3
	s_andn2_saveexec_b64 s[76:77], s[76:77]
; %bb.211:                              ;   in Loop: Header=BB4_118 Depth=3
	v_cmp_gt_i16_sdwa vcc, sext(v0), v27 src0_sel:BYTE_0 src1_sel:DWORD
	v_cndmask_b32_e32 v0, v5, v8, vcc
	v_cmp_eq_u32_e32 vcc, 0, v28
	v_cndmask_b32_e32 v21, v9, v0, vcc
; %bb.212:                              ;   in Loop: Header=BB4_118 Depth=3
	s_or_b64 exec, exec, s[76:77]
.LBB4_213:                              ;   in Loop: Header=BB4_118 Depth=3
	s_or_b64 exec, exec, s[74:75]
.LBB4_214:                              ;   in Loop: Header=BB4_118 Depth=3
	s_or_b64 exec, exec, s[18:19]
	v_and_b32_sdwa v28, v2, s37 dst_sel:DWORD dst_unused:UNUSED_PAD src0_sel:WORD_1 src1_sel:DWORD
	v_lshrrev_b32_e32 v0, 16, v2
	v_cmp_ne_u16_e32 vcc, 0, v28
	s_and_saveexec_b64 s[18:19], vcc
	s_cbranch_execz .LBB4_222
; %bb.215:                              ;   in Loop: Header=BB4_118 Depth=3
	v_cmp_ne_u16_e32 vcc, s48, v28
	v_bfrev_b32_e32 v25, 1
	s_and_saveexec_b64 s[74:75], vcc
	s_cbranch_execz .LBB4_221
; %bb.216:                              ;   in Loop: Header=BB4_118 Depth=3
	v_and_b32_e32 v25, 0x7c0000, v2
	v_bfe_u32 v28, v2, 16, 2
	v_cmp_ne_u32_e32 vcc, s51, v25
                                        ; implicit-def: $vgpr25
	s_and_saveexec_b64 s[76:77], vcc
	s_xor_b64 s[76:77], exec, s[76:77]
	s_cbranch_execz .LBB4_218
; %bb.217:                              ;   in Loop: Header=BB4_118 Depth=3
	v_ffbh_u32_e32 v29, v28
	v_min_u32_e32 v31, 32, v29
	v_lshrrev_b32_e32 v0, 16, v2
	v_subrev_u32_e32 v29, 29, v31
	v_lshlrev_b64 v[29:30], v29, v[0:1]
	v_bfe_u32 v25, v2, 18, 5
	v_sub_u32_e32 v0, 30, v31
	v_and_b32_e32 v29, 3, v29
	v_cmp_eq_u32_e32 vcc, 0, v25
	v_cndmask_b32_e32 v0, v25, v0, vcc
	v_cndmask_b32_e32 v25, v28, v29, vcc
	v_lshlrev_b32_e32 v28, 8, v2
	v_and_b32_e32 v28, 0x80000000, v28
	v_lshl_add_u32 v0, v0, 23, v28
	v_lshl_or_b32 v0, v25, 21, v0
	v_add_u32_e32 v25, 0x38000000, v0
                                        ; implicit-def: $vgpr28
                                        ; implicit-def: $vgpr0
.LBB4_218:                              ;   in Loop: Header=BB4_118 Depth=3
	s_andn2_saveexec_b64 s[76:77], s[76:77]
; %bb.219:                              ;   in Loop: Header=BB4_118 Depth=3
	v_cmp_gt_i16_sdwa vcc, sext(v0), v27 src0_sel:BYTE_0 src1_sel:DWORD
	v_cndmask_b32_e32 v0, v5, v8, vcc
	v_cmp_eq_u32_e32 vcc, 0, v28
	v_cndmask_b32_e32 v25, v9, v0, vcc
; %bb.220:                              ;   in Loop: Header=BB4_118 Depth=3
	s_or_b64 exec, exec, s[76:77]
.LBB4_221:                              ;   in Loop: Header=BB4_118 Depth=3
	s_or_b64 exec, exec, s[74:75]
.LBB4_222:                              ;   in Loop: Header=BB4_118 Depth=3
	s_or_b64 exec, exec, s[18:19]
	v_mul_f32_e32 v21, v21, v25
	v_and_b32_e32 v28, 0x7f800000, v21
	v_mov_b32_e32 v29, v3
	v_cmp_ne_u64_e32 vcc, s[56:57], v[28:29]
	v_and_b32_e32 v30, 0x7fffff, v21
	v_mov_b32_e32 v31, v3
                                        ; implicit-def: $vgpr58
	s_and_saveexec_b64 s[18:19], vcc
	s_xor_b64 s[74:75], exec, s[18:19]
	s_cbranch_execz .LBB4_236
; %bb.223:                              ;   in Loop: Header=BB4_118 Depth=3
	v_and_b32_e32 v28, 0x7fffffff, v21
	v_mov_b32_e32 v29, v3
	v_cmp_gt_u64_e32 vcc, s[58:59], v[28:29]
	v_and_b32_sdwa v0, v21, s48 dst_sel:DWORD dst_unused:UNUSED_PAD src0_sel:BYTE_3 src1_sel:DWORD
                                        ; implicit-def: $vgpr58
	s_and_saveexec_b64 s[18:19], vcc
	s_xor_b64 s[76:77], exec, s[18:19]
	s_cbranch_execz .LBB4_233
; %bb.224:                              ;   in Loop: Header=BB4_118 Depth=3
	v_mov_b32_e32 v58, 0
	v_cmp_ne_u32_e32 vcc, 0, v21
	s_and_saveexec_b64 s[78:79], vcc
	s_cbranch_execz .LBB4_232
; %bb.225:                              ;   in Loop: Header=BB4_118 Depth=3
	v_bfe_u32 v21, v21, 23, 8
	v_cmp_gt_u32_e64 s[18:19], s49, v21
	v_sub_u32_e32 v25, 0x71, v21
	v_cmp_eq_u32_e32 vcc, 0, v21
	v_cndmask_b32_e64 v25, 0, v25, s[18:19]
	v_or_b32_e32 v28, 0x800000, v30
	v_cndmask_b32_e32 v25, v25, v40, vcc
	v_cndmask_b32_e32 v30, v28, v30, vcc
	v_add_u32_e32 v28, 21, v25
	v_lshlrev_b64 v[28:29], v28, -1
	v_add_u32_e32 v38, 20, v25
	v_lshlrev_b64 v[38:39], v38, 1
	v_bfi_b32 v29, v29, 0, 0
	v_bfi_b32 v28, v28, 0, v30
	v_lshrrev_b64 v[30:31], v25, v[30:31]
	v_cmp_eq_u64_e64 s[18:19], v[28:29], v[38:39]
	v_mov_b32_e32 v28, v30
	v_mov_b32_e32 v29, v31
	s_and_saveexec_b64 s[88:89], s[18:19]
; %bb.226:                              ;   in Loop: Header=BB4_118 Depth=3
	v_bfe_u32 v28, v30, 21, 1
	v_add_co_u32_e64 v28, s[18:19], v30, v28
	v_add_co_u32_e64 v28, s[18:19], -1, v28
; %bb.227:                              ;   in Loop: Header=BB4_118 Depth=3
	s_or_b64 exec, exec, s[88:89]
	v_add_u32_e32 v21, 0xffffff81, v21
	v_cndmask_b32_e32 v21, v21, v41, vcc
	v_lshrrev_b32_e32 v29, 23, v30
	v_add3_u32 v29, v25, v21, v29
	v_add_u32_e32 v25, 14, v29
	v_and_b32_e32 v21, 0x1fffff, v28
	v_add_u32_e32 v30, v21, v30
	v_mov_b32_e32 v31, v3
	v_cmp_ne_u32_e32 vcc, 0, v25
                                        ; implicit-def: $vgpr21
	s_and_saveexec_b64 s[18:19], vcc
	s_xor_b64 s[18:19], exec, s[18:19]
; %bb.228:                              ;   in Loop: Header=BB4_118 Depth=3
	v_cmp_lt_u64_e32 vcc, s[60:61], v[30:31]
	v_add_u32_e32 v21, 15, v29
	v_cndmask_b32_e32 v21, v25, v21, vcc
	v_cndmask_b32_e64 v25, 0, 1, vcc
	v_lshrrev_b64 v[30:31], v25, v[30:31]
; %bb.229:                              ;   in Loop: Header=BB4_118 Depth=3
	s_andn2_saveexec_b64 s[18:19], s[18:19]
; %bb.230:                              ;   in Loop: Header=BB4_118 Depth=3
	v_bfe_u32 v21, v30, 23, 1
; %bb.231:                              ;   in Loop: Header=BB4_118 Depth=3
	s_or_b64 exec, exec, s[18:19]
	v_lshrrev_b64 v[28:29], 21, v[30:31]
	v_cmp_gt_i32_e32 vcc, 32, v21
	v_cndmask_b32_e32 v29, 0, v29, vcc
	v_cndmask_b32_e32 v28, 3, v28, vcc
	v_cmp_eq_u32_e32 vcc, 0, v21
	v_min_i32_e32 v21, 31, v21
	v_cmp_eq_u64_e64 s[18:19], 0, v[28:29]
	v_lshlrev_b32_e32 v21, 2, v21
	v_and_b32_e32 v21, 0xfc, v21
	v_and_or_b32 v21, v28, 3, v21
	s_and_b64 s[18:19], vcc, s[18:19]
	v_cndmask_b32_e64 v21, v21, 0, s[18:19]
	v_or_b32_e32 v58, v21, v0
.LBB4_232:                              ;   in Loop: Header=BB4_118 Depth=3
	s_or_b64 exec, exec, s[78:79]
                                        ; implicit-def: $vgpr0
.LBB4_233:                              ;   in Loop: Header=BB4_118 Depth=3
	s_andn2_saveexec_b64 s[18:19], s[76:77]
; %bb.234:                              ;   in Loop: Header=BB4_118 Depth=3
	v_or_b32_e32 v58, 0x7b, v0
; %bb.235:                              ;   in Loop: Header=BB4_118 Depth=3
	s_or_b64 exec, exec, s[18:19]
                                        ; implicit-def: $vgpr21
                                        ; implicit-def: $vgpr30_vgpr31
.LBB4_236:                              ;   in Loop: Header=BB4_118 Depth=3
	s_andn2_saveexec_b64 s[18:19], s[74:75]
	s_cbranch_execz .LBB4_242
; %bb.237:                              ;   in Loop: Header=BB4_118 Depth=3
	v_cmp_ne_u64_e32 vcc, 0, v[30:31]
                                        ; implicit-def: $vgpr58
	s_and_saveexec_b64 s[74:75], vcc
	s_xor_b64 s[74:75], exec, s[74:75]
; %bb.238:                              ;   in Loop: Header=BB4_118 Depth=3
	v_or_b32_sdwa v58, v21, s50 dst_sel:DWORD dst_unused:UNUSED_PAD src0_sel:BYTE_3 src1_sel:DWORD
                                        ; implicit-def: $vgpr21
; %bb.239:                              ;   in Loop: Header=BB4_118 Depth=3
	s_andn2_saveexec_b64 s[74:75], s[74:75]
; %bb.240:                              ;   in Loop: Header=BB4_118 Depth=3
	v_cmp_lt_i32_e32 vcc, -1, v21
	v_cndmask_b32_e32 v58, v12, v50, vcc
; %bb.241:                              ;   in Loop: Header=BB4_118 Depth=3
	s_or_b64 exec, exec, s[74:75]
.LBB4_242:                              ;   in Loop: Header=BB4_118 Depth=3
	s_or_b64 exec, exec, s[18:19]
	v_cmp_lt_u32_e32 vcc, s47, v20
	v_mov_b32_e32 v21, 0
	v_mov_b32_e32 v25, 0
	s_and_saveexec_b64 s[18:19], vcc
	s_cbranch_execz .LBB4_250
; %bb.243:                              ;   in Loop: Header=BB4_118 Depth=3
	v_lshrrev_b32_e32 v0, 24, v20
	v_cmp_ne_u32_e32 vcc, s48, v0
	v_bfrev_b32_e32 v25, 1
	s_and_saveexec_b64 s[74:75], vcc
	s_cbranch_execz .LBB4_249
; %bb.244:                              ;   in Loop: Header=BB4_118 Depth=3
	v_and_b32_e32 v25, 0x7c000000, v20
	v_bfe_u32 v28, v20, 24, 2
	v_cmp_ne_u32_e32 vcc, s52, v25
                                        ; implicit-def: $vgpr25
	s_and_saveexec_b64 s[76:77], vcc
	s_xor_b64 s[76:77], exec, s[76:77]
	s_cbranch_execz .LBB4_246
; %bb.245:                              ;   in Loop: Header=BB4_118 Depth=3
	v_ffbh_u32_e32 v29, v28
	v_min_u32_e32 v31, 32, v29
	v_subrev_u32_e32 v29, 29, v31
	v_bfe_u32 v25, v20, 26, 5
	v_lshlrev_b64 v[29:30], v29, v[0:1]
	v_sub_u32_e32 v0, 30, v31
	v_cmp_eq_u32_e32 vcc, 0, v25
	v_and_b32_e32 v29, 3, v29
	v_cndmask_b32_e32 v0, v25, v0, vcc
	v_and_b32_e32 v20, 0x80000000, v20
	v_cndmask_b32_e32 v25, v28, v29, vcc
	v_lshl_add_u32 v0, v0, 23, v20
	v_lshl_or_b32 v0, v25, 21, v0
	v_add_u32_e32 v25, 0x38000000, v0
                                        ; implicit-def: $vgpr28
.LBB4_246:                              ;   in Loop: Header=BB4_118 Depth=3
	s_andn2_saveexec_b64 s[76:77], s[76:77]
; %bb.247:                              ;   in Loop: Header=BB4_118 Depth=3
	v_cmp_lt_i32_e32 vcc, -1, v20
	v_cndmask_b32_e32 v0, v5, v8, vcc
	v_cmp_eq_u32_e32 vcc, 0, v28
	v_cndmask_b32_e32 v25, v9, v0, vcc
; %bb.248:                              ;   in Loop: Header=BB4_118 Depth=3
	s_or_b64 exec, exec, s[76:77]
.LBB4_249:                              ;   in Loop: Header=BB4_118 Depth=3
	s_or_b64 exec, exec, s[74:75]
.LBB4_250:                              ;   in Loop: Header=BB4_118 Depth=3
	s_or_b64 exec, exec, s[18:19]
	v_cmp_lt_u32_e32 vcc, s47, v2
	s_and_saveexec_b64 s[18:19], vcc
	s_cbranch_execz .LBB4_258
; %bb.251:                              ;   in Loop: Header=BB4_118 Depth=3
	v_lshrrev_b32_e32 v0, 24, v2
	v_cmp_ne_u32_e32 vcc, s48, v0
	v_bfrev_b32_e32 v21, 1
	s_and_saveexec_b64 s[74:75], vcc
	s_cbranch_execz .LBB4_257
; %bb.252:                              ;   in Loop: Header=BB4_118 Depth=3
	v_and_b32_e32 v21, 0x7c000000, v2
	v_bfe_u32 v20, v2, 24, 2
	v_cmp_ne_u32_e32 vcc, s52, v21
                                        ; implicit-def: $vgpr21
	s_and_saveexec_b64 s[76:77], vcc
	s_xor_b64 s[76:77], exec, s[76:77]
	s_cbranch_execz .LBB4_254
; %bb.253:                              ;   in Loop: Header=BB4_118 Depth=3
	v_ffbh_u32_e32 v28, v20
	v_min_u32_e32 v30, 32, v28
	v_subrev_u32_e32 v28, 29, v30
	v_bfe_u32 v21, v2, 26, 5
	v_lshlrev_b64 v[28:29], v28, v[0:1]
	v_sub_u32_e32 v0, 30, v30
	v_cmp_eq_u32_e32 vcc, 0, v21
	v_and_b32_e32 v28, 3, v28
	v_cndmask_b32_e32 v0, v21, v0, vcc
	v_and_b32_e32 v2, 0x80000000, v2
	v_cndmask_b32_e32 v20, v20, v28, vcc
	v_lshl_add_u32 v0, v0, 23, v2
	v_lshl_or_b32 v0, v20, 21, v0
	v_add_u32_e32 v21, 0x38000000, v0
                                        ; implicit-def: $vgpr20
.LBB4_254:                              ;   in Loop: Header=BB4_118 Depth=3
	s_andn2_saveexec_b64 s[76:77], s[76:77]
; %bb.255:                              ;   in Loop: Header=BB4_118 Depth=3
	v_cmp_lt_i32_e32 vcc, -1, v2
	v_cndmask_b32_e32 v0, v5, v8, vcc
	v_cmp_eq_u32_e32 vcc, 0, v20
	v_cndmask_b32_e32 v21, v9, v0, vcc
; %bb.256:                              ;   in Loop: Header=BB4_118 Depth=3
	s_or_b64 exec, exec, s[76:77]
.LBB4_257:                              ;   in Loop: Header=BB4_118 Depth=3
	s_or_b64 exec, exec, s[74:75]
.LBB4_258:                              ;   in Loop: Header=BB4_118 Depth=3
	s_or_b64 exec, exec, s[18:19]
	v_mul_f32_e32 v20, v25, v21
	v_and_b32_e32 v28, 0x7f800000, v20
	v_mov_b32_e32 v29, v3
	v_cmp_ne_u64_e32 vcc, s[56:57], v[28:29]
	v_and_b32_e32 v2, 0x7fffff, v20
                                        ; implicit-def: $vgpr30
	s_and_saveexec_b64 s[18:19], vcc
	s_xor_b64 s[74:75], exec, s[18:19]
	s_cbranch_execz .LBB4_272
; %bb.259:                              ;   in Loop: Header=BB4_118 Depth=3
	v_and_b32_e32 v28, 0x7fffffff, v20
	v_mov_b32_e32 v29, v3
	v_cmp_gt_u64_e32 vcc, s[58:59], v[28:29]
	v_and_b32_sdwa v0, v20, s48 dst_sel:DWORD dst_unused:UNUSED_PAD src0_sel:BYTE_3 src1_sel:DWORD
                                        ; implicit-def: $vgpr30
	s_and_saveexec_b64 s[18:19], vcc
	s_xor_b64 s[76:77], exec, s[18:19]
	s_cbranch_execz .LBB4_269
; %bb.260:                              ;   in Loop: Header=BB4_118 Depth=3
	v_mov_b32_e32 v30, 0
	v_cmp_ne_u32_e32 vcc, 0, v20
	s_and_saveexec_b64 s[78:79], vcc
	s_cbranch_execz .LBB4_268
; %bb.261:                              ;   in Loop: Header=BB4_118 Depth=3
	v_bfe_u32 v25, v20, 23, 8
	v_cmp_gt_u32_e64 s[18:19], s49, v25
	v_sub_u32_e32 v20, 0x71, v25
	v_cmp_eq_u32_e32 vcc, 0, v25
	v_cndmask_b32_e64 v20, 0, v20, s[18:19]
	v_cndmask_b32_e32 v30, v20, v40, vcc
	v_or_b32_e32 v21, 0x800000, v2
	v_add_u32_e32 v20, 21, v30
	v_cndmask_b32_e32 v2, v21, v2, vcc
	v_lshlrev_b64 v[20:21], v20, -1
	v_add_u32_e32 v28, 20, v30
	v_lshlrev_b64 v[28:29], v28, 1
	v_bfi_b32 v21, v21, 0, 0
	v_bfi_b32 v20, v20, 0, v2
	v_cmp_eq_u64_e64 s[18:19], v[20:21], v[28:29]
	v_lshrrev_b64 v[20:21], v30, v[2:3]
	v_mov_b32_e32 v29, v21
	v_mov_b32_e32 v28, v20
	s_and_saveexec_b64 s[88:89], s[18:19]
; %bb.262:                              ;   in Loop: Header=BB4_118 Depth=3
	v_bfe_u32 v2, v20, 21, 1
	v_add_co_u32_e64 v2, s[18:19], v20, v2
	v_add_co_u32_e64 v28, s[18:19], -1, v2
; %bb.263:                              ;   in Loop: Header=BB4_118 Depth=3
	s_or_b64 exec, exec, s[88:89]
	v_add_u32_e32 v2, 0xffffff81, v25
	v_cndmask_b32_e32 v2, v2, v41, vcc
	v_lshrrev_b32_e32 v21, 23, v20
	v_add3_u32 v30, v30, v2, v21
	v_add_u32_e32 v29, 14, v30
	v_and_b32_e32 v2, 0x1fffff, v28
	v_add_u32_e32 v2, v2, v20
	v_cmp_ne_u32_e32 vcc, 0, v29
                                        ; implicit-def: $vgpr20_vgpr21
                                        ; implicit-def: $vgpr25
	s_and_saveexec_b64 s[18:19], vcc
	s_xor_b64 s[18:19], exec, s[18:19]
; %bb.264:                              ;   in Loop: Header=BB4_118 Depth=3
	v_cmp_lt_u64_e32 vcc, s[60:61], v[2:3]
	v_add_u32_e32 v20, 15, v30
	v_cndmask_b32_e32 v25, v29, v20, vcc
	v_cndmask_b32_e64 v20, 0, 1, vcc
	v_lshrrev_b64 v[20:21], v20, v[2:3]
; %bb.265:                              ;   in Loop: Header=BB4_118 Depth=3
	s_andn2_saveexec_b64 s[18:19], s[18:19]
; %bb.266:                              ;   in Loop: Header=BB4_118 Depth=3
	v_mov_b32_e32 v21, v3
	v_bfe_u32 v25, v2, 23, 1
	v_mov_b32_e32 v20, v2
; %bb.267:                              ;   in Loop: Header=BB4_118 Depth=3
	s_or_b64 exec, exec, s[18:19]
	v_lshrrev_b64 v[20:21], 21, v[20:21]
	v_cmp_gt_i32_e32 vcc, 32, v25
	v_cndmask_b32_e32 v21, 0, v21, vcc
	v_cndmask_b32_e32 v20, 3, v20, vcc
	v_min_i32_e32 v2, 31, v25
	v_cmp_eq_u64_e64 s[18:19], 0, v[20:21]
	v_lshlrev_b32_e32 v2, 2, v2
	v_cmp_eq_u32_e32 vcc, 0, v25
	v_and_b32_e32 v2, 0xfc, v2
	v_and_or_b32 v2, v20, 3, v2
	s_and_b64 s[18:19], vcc, s[18:19]
	v_cndmask_b32_e64 v2, v2, 0, s[18:19]
	v_or_b32_e32 v30, v2, v0
.LBB4_268:                              ;   in Loop: Header=BB4_118 Depth=3
	s_or_b64 exec, exec, s[78:79]
                                        ; implicit-def: $vgpr0
.LBB4_269:                              ;   in Loop: Header=BB4_118 Depth=3
	s_andn2_saveexec_b64 s[18:19], s[76:77]
; %bb.270:                              ;   in Loop: Header=BB4_118 Depth=3
	v_or_b32_e32 v30, 0x7b, v0
; %bb.271:                              ;   in Loop: Header=BB4_118 Depth=3
	s_or_b64 exec, exec, s[18:19]
                                        ; implicit-def: $vgpr20
.LBB4_272:                              ;   in Loop: Header=BB4_118 Depth=3
	s_andn2_saveexec_b64 s[18:19], s[74:75]
	s_cbranch_execz .LBB4_278
; %bb.273:                              ;   in Loop: Header=BB4_118 Depth=3
	v_cmp_ne_u64_e32 vcc, 0, v[2:3]
                                        ; implicit-def: $vgpr30
	s_and_saveexec_b64 s[74:75], vcc
	s_xor_b64 s[74:75], exec, s[74:75]
; %bb.274:                              ;   in Loop: Header=BB4_118 Depth=3
	v_or_b32_sdwa v30, v20, s50 dst_sel:DWORD dst_unused:UNUSED_PAD src0_sel:BYTE_3 src1_sel:DWORD
                                        ; implicit-def: $vgpr20
; %bb.275:                              ;   in Loop: Header=BB4_118 Depth=3
	s_andn2_saveexec_b64 s[74:75], s[74:75]
; %bb.276:                              ;   in Loop: Header=BB4_118 Depth=3
	v_cmp_lt_i32_e32 vcc, -1, v20
	v_cndmask_b32_e32 v30, v12, v50, vcc
; %bb.277:                              ;   in Loop: Header=BB4_118 Depth=3
	s_or_b64 exec, exec, s[74:75]
.LBB4_278:                              ;   in Loop: Header=BB4_118 Depth=3
	s_or_b64 exec, exec, s[18:19]
	v_cmp_ne_u16_sdwa s[74:75], v22, v3 src0_sel:BYTE_0 src1_sel:DWORD
	v_mov_b32_e32 v0, 0
	v_mov_b32_e32 v20, 0
	s_and_saveexec_b64 s[18:19], s[74:75]
	s_cbranch_execz .LBB4_286
; %bb.279:                              ;   in Loop: Header=BB4_118 Depth=3
	v_cmp_ne_u16_sdwa s[76:77], sext(v22), s38 src0_sel:BYTE_0 src1_sel:DWORD
	v_bfrev_b32_e32 v20, 1
	s_and_saveexec_b64 s[74:75], s[76:77]
	s_cbranch_execz .LBB4_285
; %bb.280:                              ;   in Loop: Header=BB4_118 Depth=3
	v_and_b32_e32 v20, 0x7c, v22
	v_and_b32_e32 v2, 3, v22
	v_cmp_ne_u32_e32 vcc, s39, v20
                                        ; implicit-def: $vgpr20
	s_and_saveexec_b64 s[76:77], vcc
	s_xor_b64 s[76:77], exec, s[76:77]
	s_cbranch_execz .LBB4_282
; %bb.281:                              ;   in Loop: Header=BB4_118 Depth=3
	v_ffbh_u32_e32 v20, v2
	v_min_u32_e32 v28, 32, v20
	v_subrev_u32_e32 v20, 29, v28
	v_lshlrev_b64 v[20:21], v20, v[22:23]
	v_bfe_u32 v25, v22, 2, 5
	v_and_b32_e32 v20, 3, v20
	v_cmp_eq_u32_e32 vcc, 0, v25
	v_sub_u32_e32 v21, 30, v28
	v_cndmask_b32_e32 v2, v2, v20, vcc
	v_lshlrev_b32_e32 v20, 24, v22
	v_cndmask_b32_e32 v21, v25, v21, vcc
	v_and_b32_e32 v20, 0x80000000, v20
	v_lshl_add_u32 v20, v21, 23, v20
	v_lshl_or_b32 v2, v2, 21, v20
	v_add_u32_e32 v20, 0x38000000, v2
                                        ; implicit-def: $vgpr2
.LBB4_282:                              ;   in Loop: Header=BB4_118 Depth=3
	s_andn2_saveexec_b64 s[76:77], s[76:77]
; %bb.283:                              ;   in Loop: Header=BB4_118 Depth=3
	v_cmp_gt_i16_sdwa vcc, sext(v22), v27 src0_sel:BYTE_0 src1_sel:DWORD
	v_cndmask_b32_e32 v20, v5, v8, vcc
	v_cmp_eq_u32_e32 vcc, 0, v2
	v_cndmask_b32_e32 v20, v9, v20, vcc
; %bb.284:                              ;   in Loop: Header=BB4_118 Depth=3
	s_or_b64 exec, exec, s[76:77]
.LBB4_285:                              ;   in Loop: Header=BB4_118 Depth=3
	s_or_b64 exec, exec, s[74:75]
.LBB4_286:                              ;   in Loop: Header=BB4_118 Depth=3
	s_or_b64 exec, exec, s[18:19]
	v_alignbit_b32 v2, v59, v4, v24
	v_cmp_ne_u16_sdwa s[74:75], v2, v3 src0_sel:BYTE_0 src1_sel:DWORD
	s_and_saveexec_b64 s[18:19], s[74:75]
	s_cbranch_execz .LBB4_294
; %bb.287:                              ;   in Loop: Header=BB4_118 Depth=3
	v_cmp_ne_u16_sdwa s[76:77], sext(v2), s38 src0_sel:BYTE_0 src1_sel:DWORD
	v_bfrev_b32_e32 v0, 1
	s_and_saveexec_b64 s[74:75], s[76:77]
	s_cbranch_execz .LBB4_293
; %bb.288:                              ;   in Loop: Header=BB4_118 Depth=3
	v_and_b32_e32 v0, 0x7c, v2
	v_and_b32_e32 v4, 3, v2
	v_cmp_ne_u32_e32 vcc, s39, v0
                                        ; implicit-def: $vgpr0
	s_and_saveexec_b64 s[76:77], vcc
	s_xor_b64 s[76:77], exec, s[76:77]
	s_cbranch_execz .LBB4_290
; %bb.289:                              ;   in Loop: Header=BB4_118 Depth=3
	v_ffbh_u32_e32 v21, v4
	v_min_u32_e32 v21, 32, v21
	v_bfe_u32 v0, v2, 2, 5
	v_subrev_u32_e32 v23, 29, v21
	v_lshlrev_b64 v[23:24], v23, v[2:3]
	v_sub_u32_e32 v21, 30, v21
	v_cmp_eq_u32_e32 vcc, 0, v0
	v_cndmask_b32_e32 v0, v0, v21, vcc
	v_lshlrev_b32_e32 v21, 24, v2
	v_and_b32_e32 v23, 3, v23
	v_and_b32_e32 v21, 0x80000000, v21
	v_cndmask_b32_e32 v4, v4, v23, vcc
	v_lshl_add_u32 v0, v0, 23, v21
	v_lshl_or_b32 v0, v4, 21, v0
	v_add_u32_e32 v0, 0x38000000, v0
                                        ; implicit-def: $vgpr4
.LBB4_290:                              ;   in Loop: Header=BB4_118 Depth=3
	s_andn2_saveexec_b64 s[76:77], s[76:77]
; %bb.291:                              ;   in Loop: Header=BB4_118 Depth=3
	v_cmp_gt_i16_sdwa vcc, sext(v2), v27 src0_sel:BYTE_0 src1_sel:DWORD
	v_cndmask_b32_e32 v0, v5, v8, vcc
	v_cmp_eq_u32_e32 vcc, 0, v4
	v_cndmask_b32_e32 v0, v9, v0, vcc
; %bb.292:                              ;   in Loop: Header=BB4_118 Depth=3
	s_or_b64 exec, exec, s[76:77]
.LBB4_293:                              ;   in Loop: Header=BB4_118 Depth=3
	s_or_b64 exec, exec, s[74:75]
.LBB4_294:                              ;   in Loop: Header=BB4_118 Depth=3
	s_or_b64 exec, exec, s[18:19]
	v_mul_f32_e32 v23, v20, v0
	v_and_b32_e32 v24, 0x7f800000, v23
	v_mov_b32_e32 v25, v3
	v_cmp_ne_u64_e32 vcc, s[56:57], v[24:25]
	v_and_b32_e32 v20, 0x7fffff, v23
	v_mov_b32_e32 v21, v3
                                        ; implicit-def: $vgpr4
	s_and_saveexec_b64 s[18:19], vcc
	s_xor_b64 s[74:75], exec, s[18:19]
	s_cbranch_execz .LBB4_308
; %bb.295:                              ;   in Loop: Header=BB4_118 Depth=3
	v_and_b32_e32 v24, 0x7fffffff, v23
	v_mov_b32_e32 v25, v3
	v_cmp_gt_u64_e32 vcc, s[58:59], v[24:25]
	v_and_b32_sdwa v0, v23, s48 dst_sel:DWORD dst_unused:UNUSED_PAD src0_sel:BYTE_3 src1_sel:DWORD
                                        ; implicit-def: $vgpr4
	s_and_saveexec_b64 s[18:19], vcc
	s_xor_b64 s[76:77], exec, s[18:19]
	s_cbranch_execz .LBB4_305
; %bb.296:                              ;   in Loop: Header=BB4_118 Depth=3
	v_mov_b32_e32 v4, 0
	v_cmp_ne_u32_e32 vcc, 0, v23
	s_and_saveexec_b64 s[78:79], vcc
	s_cbranch_execz .LBB4_304
; %bb.297:                              ;   in Loop: Header=BB4_118 Depth=3
	v_bfe_u32 v4, v23, 23, 8
	v_cmp_gt_u32_e64 s[18:19], s49, v4
	v_sub_u32_e32 v23, 0x71, v4
	v_cmp_eq_u32_e32 vcc, 0, v4
	v_cndmask_b32_e64 v23, 0, v23, s[18:19]
	v_or_b32_e32 v24, 0x800000, v20
	v_cndmask_b32_e32 v23, v23, v40, vcc
	v_cndmask_b32_e32 v20, v24, v20, vcc
	v_add_u32_e32 v24, 21, v23
	v_lshlrev_b64 v[24:25], v24, -1
	v_add_u32_e32 v28, 20, v23
	v_bfi_b32 v24, v24, 0, v20
	v_lshlrev_b64 v[28:29], v28, 1
	v_lshrrev_b64 v[20:21], v23, v[20:21]
	v_bfi_b32 v25, v25, 0, 0
	v_cmp_eq_u64_e64 s[18:19], v[24:25], v[28:29]
	v_mov_b32_e32 v29, v21
	v_mov_b32_e32 v28, v20
	s_and_saveexec_b64 s[88:89], s[18:19]
; %bb.298:                              ;   in Loop: Header=BB4_118 Depth=3
	v_bfe_u32 v21, v20, 21, 1
	v_add_co_u32_e64 v21, s[18:19], v20, v21
	v_add_co_u32_e64 v28, s[18:19], -1, v21
; %bb.299:                              ;   in Loop: Header=BB4_118 Depth=3
	s_or_b64 exec, exec, s[88:89]
	v_add_u32_e32 v4, 0xffffff81, v4
	v_cndmask_b32_e32 v4, v4, v41, vcc
	v_lshrrev_b32_e32 v21, 23, v20
	v_add3_u32 v24, v23, v4, v21
	v_add_u32_e32 v23, 14, v24
	v_and_b32_e32 v4, 0x1fffff, v28
	v_add_u32_e32 v20, v4, v20
	v_mov_b32_e32 v21, v3
	v_cmp_ne_u32_e32 vcc, 0, v23
                                        ; implicit-def: $vgpr4
	s_and_saveexec_b64 s[18:19], vcc
	s_xor_b64 s[18:19], exec, s[18:19]
; %bb.300:                              ;   in Loop: Header=BB4_118 Depth=3
	v_cmp_lt_u64_e32 vcc, s[60:61], v[20:21]
	v_add_u32_e32 v4, 15, v24
	v_cndmask_b32_e32 v4, v23, v4, vcc
	v_cndmask_b32_e64 v23, 0, 1, vcc
	v_lshrrev_b64 v[20:21], v23, v[20:21]
; %bb.301:                              ;   in Loop: Header=BB4_118 Depth=3
	s_andn2_saveexec_b64 s[18:19], s[18:19]
; %bb.302:                              ;   in Loop: Header=BB4_118 Depth=3
	v_bfe_u32 v4, v20, 23, 1
; %bb.303:                              ;   in Loop: Header=BB4_118 Depth=3
	s_or_b64 exec, exec, s[18:19]
	v_lshrrev_b64 v[20:21], 21, v[20:21]
	v_cmp_gt_i32_e32 vcc, 32, v4
	v_cndmask_b32_e32 v21, 0, v21, vcc
	v_cndmask_b32_e32 v20, 3, v20, vcc
	v_cmp_eq_u32_e32 vcc, 0, v4
	v_min_i32_e32 v4, 31, v4
	v_cmp_eq_u64_e64 s[18:19], 0, v[20:21]
	v_lshlrev_b32_e32 v4, 2, v4
	v_and_b32_e32 v4, 0xfc, v4
	v_and_or_b32 v4, v20, 3, v4
	s_and_b64 s[18:19], vcc, s[18:19]
	v_cndmask_b32_e64 v4, v4, 0, s[18:19]
	v_or_b32_e32 v4, v4, v0
.LBB4_304:                              ;   in Loop: Header=BB4_118 Depth=3
	s_or_b64 exec, exec, s[78:79]
                                        ; implicit-def: $vgpr0
.LBB4_305:                              ;   in Loop: Header=BB4_118 Depth=3
	s_andn2_saveexec_b64 s[18:19], s[76:77]
; %bb.306:                              ;   in Loop: Header=BB4_118 Depth=3
	v_or_b32_e32 v4, 0x7b, v0
; %bb.307:                              ;   in Loop: Header=BB4_118 Depth=3
	s_or_b64 exec, exec, s[18:19]
                                        ; implicit-def: $vgpr23
                                        ; implicit-def: $vgpr20_vgpr21
.LBB4_308:                              ;   in Loop: Header=BB4_118 Depth=3
	s_andn2_saveexec_b64 s[18:19], s[74:75]
	s_cbranch_execz .LBB4_314
; %bb.309:                              ;   in Loop: Header=BB4_118 Depth=3
	v_cmp_ne_u64_e32 vcc, 0, v[20:21]
                                        ; implicit-def: $vgpr4
	s_and_saveexec_b64 s[74:75], vcc
	s_xor_b64 s[74:75], exec, s[74:75]
; %bb.310:                              ;   in Loop: Header=BB4_118 Depth=3
	v_or_b32_sdwa v4, v23, s50 dst_sel:DWORD dst_unused:UNUSED_PAD src0_sel:BYTE_3 src1_sel:DWORD
                                        ; implicit-def: $vgpr23
; %bb.311:                              ;   in Loop: Header=BB4_118 Depth=3
	s_andn2_saveexec_b64 s[74:75], s[74:75]
; %bb.312:                              ;   in Loop: Header=BB4_118 Depth=3
	v_cmp_lt_i32_e32 vcc, -1, v23
	v_cndmask_b32_e32 v4, v12, v50, vcc
; %bb.313:                              ;   in Loop: Header=BB4_118 Depth=3
	s_or_b64 exec, exec, s[74:75]
.LBB4_314:                              ;   in Loop: Header=BB4_118 Depth=3
	s_or_b64 exec, exec, s[18:19]
	v_lshrrev_b16_e32 v20, 8, v22
	v_cmp_ne_u16_e32 vcc, 0, v20
	v_mov_b32_e32 v0, 0
	v_mov_b32_e32 v23, 0
	s_and_saveexec_b64 s[18:19], vcc
	s_cbranch_execz .LBB4_322
; %bb.315:                              ;   in Loop: Header=BB4_118 Depth=3
	v_cmp_ne_u16_e32 vcc, s48, v20
	v_bfrev_b32_e32 v23, 1
	s_and_saveexec_b64 s[74:75], vcc
	s_cbranch_execz .LBB4_321
; %bb.316:                              ;   in Loop: Header=BB4_118 Depth=3
	v_and_b32_e32 v21, 0x7c, v20
	v_and_b32_e32 v24, 3, v20
	v_cmp_ne_u32_e32 vcc, s39, v21
                                        ; implicit-def: $vgpr23
	s_and_saveexec_b64 s[76:77], vcc
	s_xor_b64 s[76:77], exec, s[76:77]
	s_cbranch_execz .LBB4_318
; %bb.317:                              ;   in Loop: Header=BB4_118 Depth=3
	v_ffbh_u32_e32 v25, v24
	v_min_u32_e32 v25, 32, v25
	v_mov_b32_e32 v21, v3
	v_subrev_u32_e32 v28, 29, v25
	v_bfe_u32 v23, v20, 2, 5
	v_lshlrev_b64 v[20:21], v28, v[20:21]
	v_sub_u32_e32 v21, 30, v25
	v_cmp_eq_u32_e32 vcc, 0, v23
	v_cndmask_b32_e32 v21, v23, v21, vcc
	v_lshlrev_b32_e32 v23, 16, v22
	v_and_b32_e32 v20, 3, v20
	v_and_b32_e32 v23, 0x80000000, v23
	v_cndmask_b32_e32 v20, v24, v20, vcc
	v_lshl_add_u32 v21, v21, 23, v23
	v_lshl_or_b32 v20, v20, 21, v21
	v_add_u32_e32 v23, 0x38000000, v20
                                        ; implicit-def: $vgpr24
.LBB4_318:                              ;   in Loop: Header=BB4_118 Depth=3
	s_andn2_saveexec_b64 s[76:77], s[76:77]
; %bb.319:                              ;   in Loop: Header=BB4_118 Depth=3
	v_cmp_lt_i16_e32 vcc, -1, v22
	v_cndmask_b32_e32 v20, v5, v8, vcc
	v_cmp_eq_u32_e32 vcc, 0, v24
	v_cndmask_b32_e32 v23, v9, v20, vcc
; %bb.320:                              ;   in Loop: Header=BB4_118 Depth=3
	s_or_b64 exec, exec, s[76:77]
.LBB4_321:                              ;   in Loop: Header=BB4_118 Depth=3
	s_or_b64 exec, exec, s[74:75]
.LBB4_322:                              ;   in Loop: Header=BB4_118 Depth=3
	s_or_b64 exec, exec, s[18:19]
	v_lshrrev_b16_e32 v20, 8, v2
	v_cmp_ne_u16_e32 vcc, 0, v20
	s_and_saveexec_b64 s[18:19], vcc
	s_cbranch_execz .LBB4_330
; %bb.323:                              ;   in Loop: Header=BB4_118 Depth=3
	v_cmp_ne_u16_e32 vcc, s48, v20
	v_bfrev_b32_e32 v0, 1
	s_and_saveexec_b64 s[74:75], vcc
	s_cbranch_execz .LBB4_329
; %bb.324:                              ;   in Loop: Header=BB4_118 Depth=3
	v_and_b32_e32 v0, 0x7c, v20
	v_and_b32_e32 v24, 3, v20
	v_cmp_ne_u32_e32 vcc, s39, v0
                                        ; implicit-def: $vgpr0
	s_and_saveexec_b64 s[76:77], vcc
	s_xor_b64 s[76:77], exec, s[76:77]
	s_cbranch_execz .LBB4_326
; %bb.325:                              ;   in Loop: Header=BB4_118 Depth=3
	v_ffbh_u32_e32 v25, v24
	v_min_u32_e32 v25, 32, v25
	v_mov_b32_e32 v21, v3
	v_subrev_u32_e32 v28, 29, v25
	v_bfe_u32 v0, v20, 2, 5
	v_lshlrev_b64 v[20:21], v28, v[20:21]
	v_sub_u32_e32 v21, 30, v25
	v_cmp_eq_u32_e32 vcc, 0, v0
	v_cndmask_b32_e32 v0, v0, v21, vcc
	v_lshlrev_b32_e32 v21, 16, v2
	v_and_b32_e32 v20, 3, v20
	v_and_b32_e32 v21, 0x80000000, v21
	v_cndmask_b32_e32 v20, v24, v20, vcc
	v_lshl_add_u32 v0, v0, 23, v21
	v_lshl_or_b32 v0, v20, 21, v0
	v_add_u32_e32 v0, 0x38000000, v0
                                        ; implicit-def: $vgpr24
.LBB4_326:                              ;   in Loop: Header=BB4_118 Depth=3
	s_andn2_saveexec_b64 s[76:77], s[76:77]
; %bb.327:                              ;   in Loop: Header=BB4_118 Depth=3
	v_cmp_lt_i16_e32 vcc, -1, v2
	v_cndmask_b32_e32 v0, v5, v8, vcc
	v_cmp_eq_u32_e32 vcc, 0, v24
	v_cndmask_b32_e32 v0, v9, v0, vcc
; %bb.328:                              ;   in Loop: Header=BB4_118 Depth=3
	s_or_b64 exec, exec, s[76:77]
.LBB4_329:                              ;   in Loop: Header=BB4_118 Depth=3
	s_or_b64 exec, exec, s[74:75]
.LBB4_330:                              ;   in Loop: Header=BB4_118 Depth=3
	s_or_b64 exec, exec, s[18:19]
	v_mul_f32_e32 v24, v23, v0
	v_and_b32_e32 v28, 0x7f800000, v24
	v_mov_b32_e32 v29, v3
	v_cmp_ne_u64_e32 vcc, s[56:57], v[28:29]
	v_and_b32_e32 v20, 0x7fffff, v24
	v_mov_b32_e32 v21, v3
                                        ; implicit-def: $vgpr23
	s_and_saveexec_b64 s[18:19], vcc
	s_xor_b64 s[74:75], exec, s[18:19]
	s_cbranch_execz .LBB4_344
; %bb.331:                              ;   in Loop: Header=BB4_118 Depth=3
	v_and_b32_e32 v28, 0x7fffffff, v24
	v_mov_b32_e32 v29, v3
	v_cmp_gt_u64_e32 vcc, s[58:59], v[28:29]
	v_and_b32_sdwa v0, v24, s48 dst_sel:DWORD dst_unused:UNUSED_PAD src0_sel:BYTE_3 src1_sel:DWORD
                                        ; implicit-def: $vgpr23
	s_and_saveexec_b64 s[18:19], vcc
	s_xor_b64 s[76:77], exec, s[18:19]
	s_cbranch_execz .LBB4_341
; %bb.332:                              ;   in Loop: Header=BB4_118 Depth=3
	v_mov_b32_e32 v23, 0
	v_cmp_ne_u32_e32 vcc, 0, v24
	s_and_saveexec_b64 s[78:79], vcc
	s_cbranch_execz .LBB4_340
; %bb.333:                              ;   in Loop: Header=BB4_118 Depth=3
	v_bfe_u32 v23, v24, 23, 8
	v_cmp_gt_u32_e64 s[18:19], s49, v23
	v_sub_u32_e32 v24, 0x71, v23
	v_cmp_eq_u32_e32 vcc, 0, v23
	v_cndmask_b32_e64 v24, 0, v24, s[18:19]
	v_or_b32_e32 v25, 0x800000, v20
	v_cndmask_b32_e32 v24, v24, v40, vcc
	v_cndmask_b32_e32 v20, v25, v20, vcc
	v_add_u32_e32 v25, 21, v24
	v_lshlrev_b64 v[28:29], v25, -1
	v_add_u32_e32 v25, 20, v24
	v_bfi_b32 v28, v28, 0, v20
	v_lshlrev_b64 v[38:39], v25, 1
	v_lshrrev_b64 v[20:21], v24, v[20:21]
	v_bfi_b32 v29, v29, 0, 0
	v_cmp_eq_u64_e64 s[18:19], v[28:29], v[38:39]
	v_mov_b32_e32 v29, v21
	v_mov_b32_e32 v28, v20
	s_and_saveexec_b64 s[88:89], s[18:19]
; %bb.334:                              ;   in Loop: Header=BB4_118 Depth=3
	v_bfe_u32 v21, v20, 21, 1
	v_add_co_u32_e64 v21, s[18:19], v20, v21
	v_add_co_u32_e64 v28, s[18:19], -1, v21
; %bb.335:                              ;   in Loop: Header=BB4_118 Depth=3
	s_or_b64 exec, exec, s[88:89]
	v_add_u32_e32 v21, 0xffffff81, v23
	v_cndmask_b32_e32 v21, v21, v41, vcc
	v_lshrrev_b32_e32 v23, 23, v20
	v_add3_u32 v25, v24, v21, v23
	v_add_u32_e32 v24, 14, v25
	v_and_b32_e32 v21, 0x1fffff, v28
	v_add_u32_e32 v20, v21, v20
	v_mov_b32_e32 v21, v3
	v_cmp_ne_u32_e32 vcc, 0, v24
                                        ; implicit-def: $vgpr23
	s_and_saveexec_b64 s[18:19], vcc
	s_xor_b64 s[18:19], exec, s[18:19]
; %bb.336:                              ;   in Loop: Header=BB4_118 Depth=3
	v_cmp_lt_u64_e32 vcc, s[60:61], v[20:21]
	v_add_u32_e32 v23, 15, v25
	v_cndmask_b32_e32 v23, v24, v23, vcc
	v_cndmask_b32_e64 v24, 0, 1, vcc
	v_lshrrev_b64 v[20:21], v24, v[20:21]
; %bb.337:                              ;   in Loop: Header=BB4_118 Depth=3
	s_andn2_saveexec_b64 s[18:19], s[18:19]
; %bb.338:                              ;   in Loop: Header=BB4_118 Depth=3
	v_bfe_u32 v23, v20, 23, 1
; %bb.339:                              ;   in Loop: Header=BB4_118 Depth=3
	s_or_b64 exec, exec, s[18:19]
	v_lshrrev_b64 v[20:21], 21, v[20:21]
	v_cmp_gt_i32_e32 vcc, 32, v23
	v_cndmask_b32_e32 v21, 0, v21, vcc
	v_cndmask_b32_e32 v20, 3, v20, vcc
	v_cmp_eq_u64_e64 s[18:19], 0, v[20:21]
	v_min_i32_e32 v21, 31, v23
	v_lshlrev_b32_e32 v21, 2, v21
	v_cmp_eq_u32_e32 vcc, 0, v23
	v_and_b32_e32 v21, 0xfc, v21
	v_and_or_b32 v20, v20, 3, v21
	s_and_b64 s[18:19], vcc, s[18:19]
	v_cndmask_b32_e64 v20, v20, 0, s[18:19]
	v_or_b32_e32 v23, v20, v0
.LBB4_340:                              ;   in Loop: Header=BB4_118 Depth=3
	s_or_b64 exec, exec, s[78:79]
                                        ; implicit-def: $vgpr0
.LBB4_341:                              ;   in Loop: Header=BB4_118 Depth=3
	s_andn2_saveexec_b64 s[18:19], s[76:77]
; %bb.342:                              ;   in Loop: Header=BB4_118 Depth=3
	v_or_b32_e32 v23, 0x7b, v0
; %bb.343:                              ;   in Loop: Header=BB4_118 Depth=3
	s_or_b64 exec, exec, s[18:19]
                                        ; implicit-def: $vgpr24
                                        ; implicit-def: $vgpr20_vgpr21
.LBB4_344:                              ;   in Loop: Header=BB4_118 Depth=3
	s_andn2_saveexec_b64 s[18:19], s[74:75]
	s_cbranch_execz .LBB4_350
; %bb.345:                              ;   in Loop: Header=BB4_118 Depth=3
	v_cmp_ne_u64_e32 vcc, 0, v[20:21]
                                        ; implicit-def: $vgpr23
	s_and_saveexec_b64 s[74:75], vcc
	s_xor_b64 s[74:75], exec, s[74:75]
; %bb.346:                              ;   in Loop: Header=BB4_118 Depth=3
	v_or_b32_sdwa v23, v24, s50 dst_sel:DWORD dst_unused:UNUSED_PAD src0_sel:BYTE_3 src1_sel:DWORD
                                        ; implicit-def: $vgpr24
; %bb.347:                              ;   in Loop: Header=BB4_118 Depth=3
	s_andn2_saveexec_b64 s[74:75], s[74:75]
; %bb.348:                              ;   in Loop: Header=BB4_118 Depth=3
	v_cmp_lt_i32_e32 vcc, -1, v24
	v_cndmask_b32_e32 v23, v12, v50, vcc
; %bb.349:                              ;   in Loop: Header=BB4_118 Depth=3
	s_or_b64 exec, exec, s[74:75]
.LBB4_350:                              ;   in Loop: Header=BB4_118 Depth=3
	s_or_b64 exec, exec, s[18:19]
	v_lshrrev_b32_e32 v0, 16, v22
	v_cmp_ne_u16_sdwa s[74:75], v0, v3 src0_sel:BYTE_0 src1_sel:DWORD
	v_mov_b32_e32 v20, 0
	v_mov_b32_e32 v21, 0
	s_and_saveexec_b64 s[18:19], s[74:75]
	s_cbranch_execz .LBB4_358
; %bb.351:                              ;   in Loop: Header=BB4_118 Depth=3
	v_cmp_ne_u16_sdwa s[76:77], v0, s48 src0_sel:BYTE_0 src1_sel:DWORD
	v_bfrev_b32_e32 v21, 1
	s_and_saveexec_b64 s[74:75], s[76:77]
	s_cbranch_execz .LBB4_357
; %bb.352:                              ;   in Loop: Header=BB4_118 Depth=3
	v_and_b32_e32 v21, 0x7c0000, v22
	v_bfe_u32 v24, v22, 16, 2
	v_cmp_ne_u32_e32 vcc, s51, v21
                                        ; implicit-def: $vgpr21
	s_and_saveexec_b64 s[76:77], vcc
	s_xor_b64 s[76:77], exec, s[76:77]
	s_cbranch_execz .LBB4_354
; %bb.353:                              ;   in Loop: Header=BB4_118 Depth=3
	v_ffbh_u32_e32 v25, v24
	v_min_u32_e32 v25, 32, v25
	v_subrev_u32_e32 v28, 29, v25
	v_lshlrev_b64 v[28:29], v28, v[0:1]
	v_bfe_u32 v21, v22, 18, 5
	v_sub_u32_e32 v0, 30, v25
	v_and_b32_e32 v25, 3, v28
	v_cmp_eq_u32_e32 vcc, 0, v21
	v_cndmask_b32_e32 v0, v21, v0, vcc
	v_cndmask_b32_e32 v21, v24, v25, vcc
	v_lshlrev_b32_e32 v24, 8, v22
	v_and_b32_e32 v24, 0x80000000, v24
	v_lshl_add_u32 v0, v0, 23, v24
	v_lshl_or_b32 v0, v21, 21, v0
	v_add_u32_e32 v21, 0x38000000, v0
                                        ; implicit-def: $vgpr24
                                        ; implicit-def: $vgpr0
.LBB4_354:                              ;   in Loop: Header=BB4_118 Depth=3
	s_andn2_saveexec_b64 s[76:77], s[76:77]
; %bb.355:                              ;   in Loop: Header=BB4_118 Depth=3
	v_cmp_gt_i16_sdwa vcc, sext(v0), v27 src0_sel:BYTE_0 src1_sel:DWORD
	v_cndmask_b32_e32 v0, v5, v8, vcc
	v_cmp_eq_u32_e32 vcc, 0, v24
	v_cndmask_b32_e32 v21, v9, v0, vcc
; %bb.356:                              ;   in Loop: Header=BB4_118 Depth=3
	s_or_b64 exec, exec, s[76:77]
.LBB4_357:                              ;   in Loop: Header=BB4_118 Depth=3
	s_or_b64 exec, exec, s[74:75]
.LBB4_358:                              ;   in Loop: Header=BB4_118 Depth=3
	s_or_b64 exec, exec, s[18:19]
	v_and_b32_sdwa v24, v2, s37 dst_sel:DWORD dst_unused:UNUSED_PAD src0_sel:WORD_1 src1_sel:DWORD
	v_lshrrev_b32_e32 v0, 16, v2
	v_cmp_ne_u16_e32 vcc, 0, v24
	s_and_saveexec_b64 s[18:19], vcc
	s_cbranch_execz .LBB4_366
; %bb.359:                              ;   in Loop: Header=BB4_118 Depth=3
	v_cmp_ne_u16_e32 vcc, s48, v24
	v_bfrev_b32_e32 v20, 1
	s_and_saveexec_b64 s[74:75], vcc
	s_cbranch_execz .LBB4_365
; %bb.360:                              ;   in Loop: Header=BB4_118 Depth=3
	v_and_b32_e32 v20, 0x7c0000, v2
	v_bfe_u32 v24, v2, 16, 2
	v_cmp_ne_u32_e32 vcc, s51, v20
                                        ; implicit-def: $vgpr20
	s_and_saveexec_b64 s[76:77], vcc
	s_xor_b64 s[76:77], exec, s[76:77]
	s_cbranch_execz .LBB4_362
; %bb.361:                              ;   in Loop: Header=BB4_118 Depth=3
	v_ffbh_u32_e32 v25, v24
	v_min_u32_e32 v25, 32, v25
	v_subrev_u32_e32 v28, 29, v25
	v_lshlrev_b64 v[28:29], v28, v[0:1]
	v_bfe_u32 v20, v2, 18, 5
	v_sub_u32_e32 v0, 30, v25
	v_and_b32_e32 v25, 3, v28
	v_cmp_eq_u32_e32 vcc, 0, v20
	v_cndmask_b32_e32 v0, v20, v0, vcc
	v_cndmask_b32_e32 v20, v24, v25, vcc
	v_lshlrev_b32_e32 v24, 8, v2
	v_and_b32_e32 v24, 0x80000000, v24
	v_lshl_add_u32 v0, v0, 23, v24
	v_lshl_or_b32 v0, v20, 21, v0
	v_add_u32_e32 v20, 0x38000000, v0
                                        ; implicit-def: $vgpr24
                                        ; implicit-def: $vgpr0
.LBB4_362:                              ;   in Loop: Header=BB4_118 Depth=3
	s_andn2_saveexec_b64 s[76:77], s[76:77]
; %bb.363:                              ;   in Loop: Header=BB4_118 Depth=3
	v_cmp_gt_i16_sdwa vcc, sext(v0), v27 src0_sel:BYTE_0 src1_sel:DWORD
	v_cndmask_b32_e32 v0, v5, v8, vcc
	v_cmp_eq_u32_e32 vcc, 0, v24
	v_cndmask_b32_e32 v20, v9, v0, vcc
; %bb.364:                              ;   in Loop: Header=BB4_118 Depth=3
	s_or_b64 exec, exec, s[76:77]
.LBB4_365:                              ;   in Loop: Header=BB4_118 Depth=3
	s_or_b64 exec, exec, s[74:75]
.LBB4_366:                              ;   in Loop: Header=BB4_118 Depth=3
	s_or_b64 exec, exec, s[18:19]
	v_mul_f32_e32 v25, v21, v20
	v_and_b32_e32 v28, 0x7f800000, v25
	v_mov_b32_e32 v29, v3
	v_cmp_ne_u64_e32 vcc, s[56:57], v[28:29]
	v_and_b32_e32 v20, 0x7fffff, v25
	v_mov_b32_e32 v21, v3
                                        ; implicit-def: $vgpr24
	s_and_saveexec_b64 s[18:19], vcc
	s_xor_b64 s[74:75], exec, s[18:19]
	s_cbranch_execz .LBB4_380
; %bb.367:                              ;   in Loop: Header=BB4_118 Depth=3
	v_and_b32_e32 v28, 0x7fffffff, v25
	v_mov_b32_e32 v29, v3
	v_cmp_gt_u64_e32 vcc, s[58:59], v[28:29]
	v_and_b32_sdwa v0, v25, s48 dst_sel:DWORD dst_unused:UNUSED_PAD src0_sel:BYTE_3 src1_sel:DWORD
                                        ; implicit-def: $vgpr24
	s_and_saveexec_b64 s[18:19], vcc
	s_xor_b64 s[76:77], exec, s[18:19]
	s_cbranch_execz .LBB4_377
; %bb.368:                              ;   in Loop: Header=BB4_118 Depth=3
	v_mov_b32_e32 v24, 0
	v_cmp_ne_u32_e32 vcc, 0, v25
	s_and_saveexec_b64 s[78:79], vcc
	s_cbranch_execz .LBB4_376
; %bb.369:                              ;   in Loop: Header=BB4_118 Depth=3
	v_bfe_u32 v24, v25, 23, 8
	v_cmp_gt_u32_e64 s[18:19], s49, v24
	v_sub_u32_e32 v25, 0x71, v24
	v_cmp_eq_u32_e32 vcc, 0, v24
	v_cndmask_b32_e64 v25, 0, v25, s[18:19]
	v_or_b32_e32 v28, 0x800000, v20
	v_cndmask_b32_e32 v25, v25, v40, vcc
	v_cndmask_b32_e32 v20, v28, v20, vcc
	v_add_u32_e32 v28, 21, v25
	v_lshlrev_b64 v[28:29], v28, -1
	v_add_u32_e32 v31, 20, v25
	v_bfi_b32 v28, v28, 0, v20
	v_lshlrev_b64 v[38:39], v31, 1
	v_lshrrev_b64 v[20:21], v25, v[20:21]
	v_bfi_b32 v29, v29, 0, 0
	v_cmp_eq_u64_e64 s[18:19], v[28:29], v[38:39]
	v_mov_b32_e32 v29, v21
	v_mov_b32_e32 v28, v20
	s_and_saveexec_b64 s[88:89], s[18:19]
; %bb.370:                              ;   in Loop: Header=BB4_118 Depth=3
	v_bfe_u32 v21, v20, 21, 1
	v_add_co_u32_e64 v21, s[18:19], v20, v21
	v_add_co_u32_e64 v28, s[18:19], -1, v21
; %bb.371:                              ;   in Loop: Header=BB4_118 Depth=3
	s_or_b64 exec, exec, s[88:89]
	v_add_u32_e32 v21, 0xffffff81, v24
	v_cndmask_b32_e32 v21, v21, v41, vcc
	v_lshrrev_b32_e32 v24, 23, v20
	v_add3_u32 v29, v25, v21, v24
	v_add_u32_e32 v25, 14, v29
	v_and_b32_e32 v21, 0x1fffff, v28
	v_add_u32_e32 v20, v21, v20
	v_mov_b32_e32 v21, v3
	v_cmp_ne_u32_e32 vcc, 0, v25
                                        ; implicit-def: $vgpr24
	s_and_saveexec_b64 s[18:19], vcc
	s_xor_b64 s[18:19], exec, s[18:19]
; %bb.372:                              ;   in Loop: Header=BB4_118 Depth=3
	v_cmp_lt_u64_e32 vcc, s[60:61], v[20:21]
	v_add_u32_e32 v24, 15, v29
	v_cndmask_b32_e32 v24, v25, v24, vcc
	v_cndmask_b32_e64 v25, 0, 1, vcc
	v_lshrrev_b64 v[20:21], v25, v[20:21]
; %bb.373:                              ;   in Loop: Header=BB4_118 Depth=3
	s_andn2_saveexec_b64 s[18:19], s[18:19]
; %bb.374:                              ;   in Loop: Header=BB4_118 Depth=3
	v_bfe_u32 v24, v20, 23, 1
; %bb.375:                              ;   in Loop: Header=BB4_118 Depth=3
	s_or_b64 exec, exec, s[18:19]
	v_lshrrev_b64 v[20:21], 21, v[20:21]
	v_cmp_gt_i32_e32 vcc, 32, v24
	v_cndmask_b32_e32 v21, 0, v21, vcc
	v_cndmask_b32_e32 v20, 3, v20, vcc
	v_cmp_eq_u64_e64 s[18:19], 0, v[20:21]
	v_min_i32_e32 v21, 31, v24
	v_lshlrev_b32_e32 v21, 2, v21
	v_cmp_eq_u32_e32 vcc, 0, v24
	v_and_b32_e32 v21, 0xfc, v21
	v_and_or_b32 v20, v20, 3, v21
	s_and_b64 s[18:19], vcc, s[18:19]
	v_cndmask_b32_e64 v20, v20, 0, s[18:19]
	v_or_b32_e32 v24, v20, v0
.LBB4_376:                              ;   in Loop: Header=BB4_118 Depth=3
	s_or_b64 exec, exec, s[78:79]
                                        ; implicit-def: $vgpr0
.LBB4_377:                              ;   in Loop: Header=BB4_118 Depth=3
	s_andn2_saveexec_b64 s[18:19], s[76:77]
; %bb.378:                              ;   in Loop: Header=BB4_118 Depth=3
	v_or_b32_e32 v24, 0x7b, v0
; %bb.379:                              ;   in Loop: Header=BB4_118 Depth=3
	s_or_b64 exec, exec, s[18:19]
                                        ; implicit-def: $vgpr25
                                        ; implicit-def: $vgpr20_vgpr21
.LBB4_380:                              ;   in Loop: Header=BB4_118 Depth=3
	s_andn2_saveexec_b64 s[18:19], s[74:75]
	s_cbranch_execz .LBB4_386
; %bb.381:                              ;   in Loop: Header=BB4_118 Depth=3
	v_cmp_ne_u64_e32 vcc, 0, v[20:21]
                                        ; implicit-def: $vgpr24
	s_and_saveexec_b64 s[74:75], vcc
	s_xor_b64 s[74:75], exec, s[74:75]
; %bb.382:                              ;   in Loop: Header=BB4_118 Depth=3
	v_or_b32_sdwa v24, v25, s50 dst_sel:DWORD dst_unused:UNUSED_PAD src0_sel:BYTE_3 src1_sel:DWORD
                                        ; implicit-def: $vgpr25
; %bb.383:                              ;   in Loop: Header=BB4_118 Depth=3
	s_andn2_saveexec_b64 s[74:75], s[74:75]
; %bb.384:                              ;   in Loop: Header=BB4_118 Depth=3
	v_cmp_lt_i32_e32 vcc, -1, v25
	v_cndmask_b32_e32 v24, v12, v50, vcc
; %bb.385:                              ;   in Loop: Header=BB4_118 Depth=3
	s_or_b64 exec, exec, s[74:75]
.LBB4_386:                              ;   in Loop: Header=BB4_118 Depth=3
	s_or_b64 exec, exec, s[18:19]
	v_mov_b32_e32 v21, v3
	v_cmp_lt_u64_e32 vcc, s[46:47], v[21:22]
	v_mov_b32_e32 v20, 0
	v_mov_b32_e32 v25, 0
	s_and_saveexec_b64 s[18:19], vcc
	s_cbranch_execz .LBB4_394
; %bb.387:                              ;   in Loop: Header=BB4_118 Depth=3
	v_lshrrev_b32_e32 v0, 24, v22
	v_cmp_ne_u32_e32 vcc, s48, v0
	v_bfrev_b32_e32 v25, 1
	s_and_saveexec_b64 s[74:75], vcc
	s_cbranch_execz .LBB4_393
; %bb.388:                              ;   in Loop: Header=BB4_118 Depth=3
	v_and_b32_e32 v25, 0x7c000000, v22
	v_bfe_u32 v28, v22, 24, 2
	v_cmp_ne_u32_e32 vcc, s52, v25
                                        ; implicit-def: $vgpr25
	s_and_saveexec_b64 s[76:77], vcc
	s_xor_b64 s[76:77], exec, s[76:77]
	s_cbranch_execz .LBB4_390
; %bb.389:                              ;   in Loop: Header=BB4_118 Depth=3
	v_ffbh_u32_e32 v25, v28
	v_min_u32_e32 v25, 32, v25
	v_subrev_u32_e32 v29, 29, v25
	v_bfe_u32 v21, v22, 26, 5
	v_lshlrev_b64 v[38:39], v29, v[0:1]
	v_sub_u32_e32 v0, 30, v25
	v_cmp_eq_u32_e32 vcc, 0, v21
	v_and_b32_e32 v25, 3, v38
	v_cndmask_b32_e32 v0, v21, v0, vcc
	v_and_b32_e32 v22, 0x80000000, v22
	v_cndmask_b32_e32 v21, v28, v25, vcc
	v_lshl_add_u32 v0, v0, 23, v22
	v_lshl_or_b32 v0, v21, 21, v0
	v_add_u32_e32 v25, 0x38000000, v0
                                        ; implicit-def: $vgpr28
                                        ; implicit-def: $vgpr21_vgpr22
.LBB4_390:                              ;   in Loop: Header=BB4_118 Depth=3
	s_andn2_saveexec_b64 s[76:77], s[76:77]
; %bb.391:                              ;   in Loop: Header=BB4_118 Depth=3
	v_cmp_lt_i64_e32 vcc, -1, v[21:22]
	v_cndmask_b32_e32 v0, v5, v8, vcc
	v_cmp_eq_u32_e32 vcc, 0, v28
	v_cndmask_b32_e32 v25, v9, v0, vcc
; %bb.392:                              ;   in Loop: Header=BB4_118 Depth=3
	s_or_b64 exec, exec, s[76:77]
.LBB4_393:                              ;   in Loop: Header=BB4_118 Depth=3
	s_or_b64 exec, exec, s[74:75]
.LBB4_394:                              ;   in Loop: Header=BB4_118 Depth=3
	s_or_b64 exec, exec, s[18:19]
	v_cmp_lt_u32_e32 vcc, s47, v2
	s_and_saveexec_b64 s[18:19], vcc
	s_cbranch_execz .LBB4_402
; %bb.395:                              ;   in Loop: Header=BB4_118 Depth=3
	v_lshrrev_b32_e32 v0, 24, v2
	v_cmp_ne_u32_e32 vcc, s48, v0
	v_bfrev_b32_e32 v20, 1
	s_and_saveexec_b64 s[74:75], vcc
	s_cbranch_execz .LBB4_401
; %bb.396:                              ;   in Loop: Header=BB4_118 Depth=3
	v_and_b32_e32 v20, 0x7c000000, v2
	v_bfe_u32 v21, v2, 24, 2
	v_cmp_ne_u32_e32 vcc, s52, v20
                                        ; implicit-def: $vgpr20
	s_and_saveexec_b64 s[76:77], vcc
	s_xor_b64 s[76:77], exec, s[76:77]
	s_cbranch_execz .LBB4_398
; %bb.397:                              ;   in Loop: Header=BB4_118 Depth=3
	v_ffbh_u32_e32 v22, v21
	v_min_u32_e32 v22, 32, v22
	v_subrev_u32_e32 v28, 29, v22
	v_bfe_u32 v20, v2, 26, 5
	v_lshlrev_b64 v[28:29], v28, v[0:1]
	v_sub_u32_e32 v0, 30, v22
	v_cmp_eq_u32_e32 vcc, 0, v20
	v_and_b32_e32 v22, 3, v28
	v_cndmask_b32_e32 v0, v20, v0, vcc
	v_and_b32_e32 v2, 0x80000000, v2
	v_cndmask_b32_e32 v20, v21, v22, vcc
	v_lshl_add_u32 v0, v0, 23, v2
	v_lshl_or_b32 v0, v20, 21, v0
	v_add_u32_e32 v20, 0x38000000, v0
                                        ; implicit-def: $vgpr21
.LBB4_398:                              ;   in Loop: Header=BB4_118 Depth=3
	s_andn2_saveexec_b64 s[76:77], s[76:77]
; %bb.399:                              ;   in Loop: Header=BB4_118 Depth=3
	v_cmp_lt_i32_e32 vcc, -1, v2
	v_cndmask_b32_e32 v0, v5, v8, vcc
	v_cmp_eq_u32_e32 vcc, 0, v21
	v_cndmask_b32_e32 v20, v9, v0, vcc
; %bb.400:                              ;   in Loop: Header=BB4_118 Depth=3
	s_or_b64 exec, exec, s[76:77]
.LBB4_401:                              ;   in Loop: Header=BB4_118 Depth=3
	s_or_b64 exec, exec, s[74:75]
.LBB4_402:                              ;   in Loop: Header=BB4_118 Depth=3
	s_or_b64 exec, exec, s[18:19]
	v_mul_f32_e32 v21, v25, v20
	v_and_b32_e32 v28, 0x7f800000, v21
	v_mov_b32_e32 v29, v3
	v_cmp_ne_u64_e32 vcc, s[56:57], v[28:29]
	v_and_b32_e32 v2, 0x7fffff, v21
                                        ; implicit-def: $vgpr20
	s_and_saveexec_b64 s[18:19], vcc
	s_xor_b64 s[74:75], exec, s[18:19]
	s_cbranch_execz .LBB4_416
; %bb.403:                              ;   in Loop: Header=BB4_118 Depth=3
	v_and_b32_e32 v28, 0x7fffffff, v21
	v_mov_b32_e32 v29, v3
	v_cmp_gt_u64_e32 vcc, s[58:59], v[28:29]
	v_and_b32_sdwa v0, v21, s48 dst_sel:DWORD dst_unused:UNUSED_PAD src0_sel:BYTE_3 src1_sel:DWORD
                                        ; implicit-def: $vgpr20
	s_and_saveexec_b64 s[18:19], vcc
	s_xor_b64 s[76:77], exec, s[18:19]
	s_cbranch_execz .LBB4_413
; %bb.404:                              ;   in Loop: Header=BB4_118 Depth=3
	v_mov_b32_e32 v20, 0
	v_cmp_ne_u32_e32 vcc, 0, v21
	s_and_saveexec_b64 s[78:79], vcc
	s_cbranch_execz .LBB4_412
; %bb.405:                              ;   in Loop: Header=BB4_118 Depth=3
	v_bfe_u32 v25, v21, 23, 8
	v_cmp_gt_u32_e64 s[18:19], s49, v25
	v_sub_u32_e32 v20, 0x71, v25
	v_cmp_eq_u32_e32 vcc, 0, v25
	v_cndmask_b32_e64 v20, 0, v20, s[18:19]
	v_cndmask_b32_e32 v28, v20, v40, vcc
	v_or_b32_e32 v21, 0x800000, v2
	v_add_u32_e32 v20, 21, v28
	v_cndmask_b32_e32 v2, v21, v2, vcc
	v_lshlrev_b64 v[20:21], v20, -1
	v_add_u32_e32 v22, 20, v28
	v_lshlrev_b64 v[38:39], v22, 1
	v_bfi_b32 v21, v21, 0, 0
	v_bfi_b32 v20, v20, 0, v2
	v_cmp_eq_u64_e64 s[18:19], v[20:21], v[38:39]
	v_lshrrev_b64 v[20:21], v28, v[2:3]
	v_mov_b32_e32 v22, v21
	v_mov_b32_e32 v21, v20
	s_and_saveexec_b64 s[88:89], s[18:19]
; %bb.406:                              ;   in Loop: Header=BB4_118 Depth=3
	v_bfe_u32 v2, v20, 21, 1
	v_add_co_u32_e64 v2, s[18:19], v20, v2
	v_add_co_u32_e64 v21, s[18:19], -1, v2
; %bb.407:                              ;   in Loop: Header=BB4_118 Depth=3
	s_or_b64 exec, exec, s[88:89]
	v_add_u32_e32 v2, 0xffffff81, v25
	v_cndmask_b32_e32 v2, v2, v41, vcc
	v_lshrrev_b32_e32 v22, 23, v20
	v_add3_u32 v28, v28, v2, v22
	v_add_u32_e32 v25, 14, v28
	v_and_b32_e32 v2, 0x1fffff, v21
	v_add_u32_e32 v2, v2, v20
	v_cmp_ne_u32_e32 vcc, 0, v25
                                        ; implicit-def: $vgpr20_vgpr21
                                        ; implicit-def: $vgpr22
	s_and_saveexec_b64 s[18:19], vcc
	s_xor_b64 s[18:19], exec, s[18:19]
; %bb.408:                              ;   in Loop: Header=BB4_118 Depth=3
	v_cmp_lt_u64_e32 vcc, s[60:61], v[2:3]
	v_add_u32_e32 v20, 15, v28
	v_cndmask_b32_e32 v22, v25, v20, vcc
	v_cndmask_b32_e64 v20, 0, 1, vcc
	v_lshrrev_b64 v[20:21], v20, v[2:3]
; %bb.409:                              ;   in Loop: Header=BB4_118 Depth=3
	s_andn2_saveexec_b64 s[18:19], s[18:19]
; %bb.410:                              ;   in Loop: Header=BB4_118 Depth=3
	v_mov_b32_e32 v21, v3
	v_bfe_u32 v22, v2, 23, 1
	v_mov_b32_e32 v20, v2
; %bb.411:                              ;   in Loop: Header=BB4_118 Depth=3
	s_or_b64 exec, exec, s[18:19]
	v_lshrrev_b64 v[20:21], 21, v[20:21]
	v_cmp_gt_i32_e32 vcc, 32, v22
	v_cndmask_b32_e32 v21, 0, v21, vcc
	v_cndmask_b32_e32 v20, 3, v20, vcc
	v_min_i32_e32 v2, 31, v22
	v_cmp_eq_u64_e64 s[18:19], 0, v[20:21]
	v_lshlrev_b32_e32 v2, 2, v2
	v_cmp_eq_u32_e32 vcc, 0, v22
	v_and_b32_e32 v2, 0xfc, v2
	v_and_or_b32 v2, v20, 3, v2
	s_and_b64 s[18:19], vcc, s[18:19]
	v_cndmask_b32_e64 v2, v2, 0, s[18:19]
	v_or_b32_e32 v20, v2, v0
.LBB4_412:                              ;   in Loop: Header=BB4_118 Depth=3
	s_or_b64 exec, exec, s[78:79]
                                        ; implicit-def: $vgpr0
.LBB4_413:                              ;   in Loop: Header=BB4_118 Depth=3
	s_andn2_saveexec_b64 s[18:19], s[76:77]
; %bb.414:                              ;   in Loop: Header=BB4_118 Depth=3
	v_or_b32_e32 v20, 0x7b, v0
; %bb.415:                              ;   in Loop: Header=BB4_118 Depth=3
	s_or_b64 exec, exec, s[18:19]
                                        ; implicit-def: $vgpr21
.LBB4_416:                              ;   in Loop: Header=BB4_118 Depth=3
	s_andn2_saveexec_b64 s[18:19], s[74:75]
	s_cbranch_execz .LBB4_117
; %bb.417:                              ;   in Loop: Header=BB4_118 Depth=3
	v_cmp_ne_u64_e32 vcc, 0, v[2:3]
                                        ; implicit-def: $vgpr20
	s_and_saveexec_b64 s[74:75], vcc
	s_xor_b64 s[74:75], exec, s[74:75]
; %bb.418:                              ;   in Loop: Header=BB4_118 Depth=3
	v_or_b32_sdwa v20, v21, s50 dst_sel:DWORD dst_unused:UNUSED_PAD src0_sel:BYTE_3 src1_sel:DWORD
                                        ; implicit-def: $vgpr21
; %bb.419:                              ;   in Loop: Header=BB4_118 Depth=3
	s_andn2_saveexec_b64 s[74:75], s[74:75]
	s_cbranch_execz .LBB4_116
; %bb.420:                              ;   in Loop: Header=BB4_118 Depth=3
	v_cmp_lt_i32_e32 vcc, -1, v21
	v_cndmask_b32_e32 v20, v12, v50, vcc
	s_branch .LBB4_116
.LBB4_421:                              ;   in Loop: Header=BB4_73 Depth=2
	s_or_b64 exec, exec, s[72:73]
	s_or_b64 exec, exec, s[62:63]
	s_and_saveexec_b64 s[18:19], s[10:11]
	s_cbranch_execz .LBB4_110
.LBB4_422:                              ;   in Loop: Header=BB4_73 Depth=2
	s_and_saveexec_b64 s[62:63], s[40:41]
	s_xor_b64 s[62:63], exec, s[62:63]
	s_cbranch_execz .LBB4_437
; %bb.423:                              ;   in Loop: Header=BB4_73 Depth=2
	s_and_saveexec_b64 s[72:73], s[12:13]
	s_cbranch_execz .LBB4_436
; %bb.424:                              ;   in Loop: Header=BB4_73 Depth=2
	s_mov_b64 s[76:77], exec
	s_waitcnt vmcnt(0) lgkmcnt(0)
	v_mbcnt_lo_u32_b32 v0, s76, 0
	v_mbcnt_hi_u32_b32 v0, s77, v0
	v_cmp_eq_u32_e32 vcc, 0, v0
	buffer_wbinvl1_vol
	s_and_saveexec_b64 s[74:75], vcc
	s_cbranch_execz .LBB4_426
; %bb.425:                              ;   in Loop: Header=BB4_73 Depth=2
	s_bcnt1_i32_b64 s26, s[76:77]
	v_mov_b32_e32 v2, s26
	ds_add_u64 v0, v[2:3]
	s_trap 2
.LBB4_426:                              ;   in Loop: Header=BB4_73 Depth=2
	s_or_b64 exec, exec, s[74:75]
	s_trap 2
	ds_read_b64 v[20:21], v0
	s_waitcnt lgkmcnt(0)
	buffer_load_dword v0, off, s[0:3], s32 offset:124 ; 4-byte Folded Reload
	s_waitcnt vmcnt(0)
	v_add_co_u32_e32 v42, vcc, v42, v0
	v_addc_co_u32_e32 v43, vcc, 0, v43, vcc
	v_cmp_lt_u64_e32 vcc, v[20:21], v[42:43]
	s_and_saveexec_b64 s[74:75], vcc
	s_cbranch_execz .LBB4_435
; %bb.427:                              ;   in Loop: Header=BB4_73 Depth=2
	s_mov_b32 s26, 0
	s_mov_b64 s[76:77], 0
                                        ; implicit-def: $sgpr78_sgpr79
                                        ; implicit-def: $sgpr88_sgpr89
	s_branch .LBB4_429
.LBB4_428:                              ;   in Loop: Header=BB4_429 Depth=3
	s_or_b64 exec, exec, s[92:93]
	s_and_b64 s[90:91], exec, s[94:95]
	s_or_b64 s[76:77], s[90:91], s[76:77]
	s_andn2_b64 s[78:79], s[78:79], exec
	s_and_b64 s[90:91], s[88:89], exec
	s_or_b64 s[78:79], s[78:79], s[90:91]
	s_andn2_b64 exec, exec, s[76:77]
	s_cbranch_execz .LBB4_433
.LBB4_429:                              ;   Parent Loop BB4_24 Depth=1
                                        ;     Parent Loop BB4_73 Depth=2
                                        ; =>    This Inner Loop Header: Depth=3
	s_add_i32 s26, s26, 1
	s_cmpk_lg_i32 s26, 0x2710
	s_cselect_b64 s[90:91], -1, 0
	s_and_b64 vcc, exec, s[90:91]
	s_cbranch_vccz .LBB4_431
; %bb.430:                              ;   in Loop: Header=BB4_429 Depth=3
	s_mov_b64 s[94:95], -1
	s_or_b64 s[88:89], s[88:89], exec
	s_and_saveexec_b64 s[92:93], s[90:91]
	s_cbranch_execz .LBB4_428
	s_branch .LBB4_432
.LBB4_431:                              ;   in Loop: Header=BB4_429 Depth=3
	s_trap 2
	ds_read_b64 v[20:21], v0
	s_andn2_b64 s[90:91], s[90:91], exec
	s_mov_b32 s26, 0
	s_waitcnt lgkmcnt(0)
	flat_load_dword v0, v[20:21] glc
	s_waitcnt vmcnt(0) lgkmcnt(0)
	buffer_wbinvl1_vol
	v_cmp_eq_u32_e32 vcc, 0, v0
	s_and_b64 s[92:93], vcc, exec
	s_or_b64 s[90:91], s[90:91], s[92:93]
	s_mov_b64 s[94:95], -1
	s_or_b64 s[88:89], s[88:89], exec
	s_and_saveexec_b64 s[92:93], s[90:91]
	s_cbranch_execz .LBB4_428
.LBB4_432:                              ;   in Loop: Header=BB4_429 Depth=3
	s_sleep 1
	s_trap 2
	ds_read_b64 v[20:21], v0
	s_waitcnt lgkmcnt(0)
	s_andn2_b64 s[88:89], s[88:89], exec
	v_cmp_ge_u64_e32 vcc, v[20:21], v[42:43]
	s_orn2_b64 s[94:95], vcc, exec
	s_branch .LBB4_428
.LBB4_433:                              ;   in Loop: Header=BB4_73 Depth=2
	s_or_b64 exec, exec, s[76:77]
	s_and_saveexec_b64 s[76:77], s[78:79]
	s_xor_b64 s[76:77], exec, s[76:77]
	s_cbranch_execz .LBB4_435
; %bb.434:                              ;   in Loop: Header=BB4_73 Depth=2
	v_mov_b32_e32 v0, 1
	ds_write_b32 v0, v0
	s_trap 2
.LBB4_435:                              ;   in Loop: Header=BB4_73 Depth=2
	s_or_b64 exec, exec, s[74:75]
	;;#ASMSTART
	s_wakeup
	;;#ASMEND
.LBB4_436:                              ;   in Loop: Header=BB4_73 Depth=2
	s_or_b64 exec, exec, s[72:73]
.LBB4_437:                              ;   in Loop: Header=BB4_73 Depth=2
	s_andn2_saveexec_b64 s[62:63], s[62:63]
	s_cbranch_execz .LBB4_439
; %bb.438:                              ;   in Loop: Header=BB4_73 Depth=2
	s_waitcnt vmcnt(0) lgkmcnt(0)
	buffer_wbinvl1_vol
	s_barrier
.LBB4_439:                              ;   in Loop: Header=BB4_73 Depth=2
	s_or_b64 exec, exec, s[62:63]
	s_or_b64 exec, exec, s[18:19]
	s_and_saveexec_b64 s[18:19], s[14:15]
	s_cbranch_execnz .LBB4_111
	s_branch .LBB4_112
.LBB4_440:                              ;   in Loop: Header=BB4_24 Depth=1
	v_mov_b32_e32 v22, v56
	v_mov_b32_e32 v23, v57
	s_and_saveexec_b64 s[18:19], s[16:17]
	s_cbranch_execnz .LBB4_442
	s_branch .LBB4_767
.LBB4_441:                              ;   in Loop: Header=BB4_24 Depth=1
	buffer_load_dword v2, off, s[0:3], s32 offset:188 ; 4-byte Folded Reload
	buffer_load_dword v4, off, s[0:3], s32 offset:192 ; 4-byte Folded Reload
	v_mov_b32_e32 v22, v56
	v_mov_b32_e32 v23, v57
	s_and_saveexec_b64 s[18:19], s[16:17]
	s_cbranch_execz .LBB4_767
.LBB4_442:                              ;   in Loop: Header=BB4_24 Depth=1
	buffer_load_dword v10, off, s[0:3], s32 offset:68 ; 4-byte Folded Reload
	buffer_load_dword v11, off, s[0:3], s32 offset:72 ; 4-byte Folded Reload
	s_waitcnt vmcnt(0)
	v_mov_b32_e32 v25, v4
	v_mov_b32_e32 v24, v2
	v_add_u32_e32 v60, 1, v36
	s_mov_b64 s[62:63], 0
	s_waitcnt lgkmcnt(0)
	flat_load_dword v0, v[10:11]
	buffer_load_dword v18, off, s[0:3], s32 offset:196 ; 4-byte Folded Reload
	buffer_load_dword v19, off, s[0:3], s32 offset:200 ; 4-byte Folded Reload
	;; [unrolled: 1-line block ×6, first 2 shown]
	s_waitcnt vmcnt(0) lgkmcnt(0)
	v_ashrrev_i32_e32 v2, 31, v0
	v_mov_b32_e32 v10, v20
	v_mov_b32_e32 v11, v21
	v_add_co_u32_e32 v10, vcc, v10, v24
	v_addc_co_u32_e32 v11, vcc, v11, v25, vcc
	v_mul_lo_u32 v4, v4, v0
	v_mul_lo_u32 v2, v6, v2
	v_mad_u64_u32 v[10:11], s[16:17], v6, v0, v[10:11]
	v_add3_u32 v0, v4, v11, v2
	buffer_load_dword v2, off, s[0:3], s32 offset:144 ; 4-byte Folded Reload
	s_waitcnt vmcnt(0)
	v_add_co_u32_e32 v10, vcc, v10, v2
	buffer_load_dword v2, off, s[0:3], s32 offset:212 ; 4-byte Folded Reload
	s_waitcnt vmcnt(0)
	v_addc_co_u32_e32 v11, vcc, v0, v2, vcc
	buffer_load_dword v0, off, s[0:3], s32 offset:224 ; 4-byte Folded Reload
	s_waitcnt vmcnt(0)
	v_add_co_u32_e32 v56, vcc, v0, v24
	buffer_load_dword v0, off, s[0:3], s32 offset:228 ; 4-byte Folded Reload
	buffer_load_dword v20, off, s[0:3], s32 offset:104 ; 4-byte Folded Reload
	;; [unrolled: 1-line block ×5, first 2 shown]
	s_waitcnt vmcnt(4)
	v_addc_co_u32_e32 v57, vcc, v0, v25, vcc
	v_and_b32_e32 v0, 7, v36
	v_mul_lo_u32 v18, v0, s36
	v_ashrrev_i32_e32 v19, 31, v18
	v_lshlrev_b64 v[18:19], 4, v[18:19]
	s_waitcnt vmcnt(3)
	v_add_co_u32_e32 v28, vcc, v20, v18
	s_waitcnt vmcnt(2)
	v_addc_co_u32_e32 v29, vcc, v21, v19, vcc
	s_branch .LBB4_444
.LBB4_443:                              ;   in Loop: Header=BB4_444 Depth=2
	v_add_co_u32_e32 v10, vcc, v10, v13
	v_addc_co_u32_e32 v11, vcc, 0, v11, vcc
	v_add_co_u32_e32 v56, vcc, v56, v13
	v_addc_co_u32_e32 v57, vcc, 0, v57, vcc
	v_sub_u32_e32 v7, v7, v13
	v_cmp_gt_i32_e32 vcc, 1, v7
	s_or_b64 s[62:63], vcc, s[62:63]
	v_add_u32_e32 v58, v58, v1
	s_andn2_b64 exec, exec, s[62:63]
	s_cbranch_execz .LBB4_766
.LBB4_444:                              ;   Parent Loop BB4_24 Depth=1
                                        ; =>  This Loop Header: Depth=2
                                        ;       Child Loop BB4_452 Depth 3
	v_and_b32_e32 v18, -4, v10
	v_mov_b32_e32 v19, v11
	global_load_dword v0, v[18:19], off glc slc
	v_min_u32_e32 v2, 8, v7
	v_and_b32_e32 v4, 3, v10
	v_add_u32_e32 v2, v4, v2
	v_cmp_lt_u32_e32 vcc, 4, v2
	v_mov_b32_e32 v34, 0
	v_mov_b32_e32 v35, 0
	s_and_saveexec_b64 s[16:17], vcc
	s_cbranch_execz .LBB4_446
; %bb.445:                              ;   in Loop: Header=BB4_444 Depth=2
	global_load_dword v35, v[18:19], off offset:4 glc slc
.LBB4_446:                              ;   in Loop: Header=BB4_444 Depth=2
	s_or_b64 exec, exec, s[16:17]
	v_cmp_lt_u64_e32 vcc, 8, v[2:3]
	s_and_saveexec_b64 s[16:17], vcc
	s_cbranch_execz .LBB4_448
; %bb.447:                              ;   in Loop: Header=BB4_444 Depth=2
	global_load_dword v34, v[18:19], off offset:8 glc slc
.LBB4_448:                              ;   in Loop: Header=BB4_444 Depth=2
	s_or_b64 exec, exec, s[16:17]
	s_waitcnt vmcnt(0)
	v_ashrrev_i32_e32 v59, 31, v58
	v_lshlrev_b64 v[18:19], 4, v[58:59]
	v_add_co_u32_e32 v32, vcc, v28, v18
	v_addc_co_u32_e32 v33, vcc, v29, v19, vcc
	global_load_dwordx4 v[18:21], v[32:33], off glc slc
	v_cmp_eq_u32_e32 vcc, 0, v51
	s_and_saveexec_b64 s[72:73], vcc
	s_cbranch_execz .LBB4_460
; %bb.449:                              ;   in Loop: Header=BB4_444 Depth=2
	s_waitcnt vmcnt(0)
	v_cmp_ne_u32_e32 vcc, v60, v19
	v_cmp_ne_u32_e64 s[16:17], v60, v21
	s_or_b64 s[16:17], vcc, s[16:17]
	v_mov_b32_e32 v51, 0
	s_and_saveexec_b64 s[74:75], s[16:17]
	s_cbranch_execz .LBB4_459
; %bb.450:                              ;   in Loop: Header=BB4_444 Depth=2
	s_mov_b32 s26, 1
	s_mov_b64 s[78:79], 0
                                        ; implicit-def: $sgpr76_sgpr77
                                        ; implicit-def: $sgpr88_sgpr89
	s_branch .LBB4_452
.LBB4_451:                              ;   in Loop: Header=BB4_452 Depth=3
	s_or_b64 exec, exec, s[92:93]
	s_and_b64 s[16:17], exec, s[16:17]
	s_or_b64 s[78:79], s[16:17], s[78:79]
	s_andn2_b64 s[16:17], s[76:77], exec
	s_and_b64 s[76:77], s[88:89], exec
	s_or_b64 s[76:77], s[16:17], s[76:77]
	s_andn2_b64 exec, exec, s[78:79]
	s_cbranch_execz .LBB4_456
.LBB4_452:                              ;   Parent Loop BB4_24 Depth=1
                                        ;     Parent Loop BB4_444 Depth=2
                                        ; =>    This Inner Loop Header: Depth=3
	global_load_dwordx4 v[18:21], v[32:33], off glc slc
	s_add_i32 s26, s26, 1
	s_mov_b64 s[16:17], -1
	s_cmpk_lg_i32 s26, 0x2710
	s_mov_b64 s[90:91], -1
                                        ; implicit-def: $vgpr2
	s_cbranch_scc0 .LBB4_454
; %bb.453:                              ;   in Loop: Header=BB4_452 Depth=3
	s_or_b64 s[88:89], s[88:89], exec
	s_and_saveexec_b64 s[92:93], s[90:91]
	s_cbranch_execz .LBB4_451
	s_branch .LBB4_455
.LBB4_454:                              ;   in Loop: Header=BB4_452 Depth=3
	s_trap 2
	ds_read_b64 v[24:25], v0
	s_mov_b32 s26, 0
	s_waitcnt vmcnt(0) lgkmcnt(0)
	flat_load_dword v2, v[24:25] glc
	s_waitcnt vmcnt(0) lgkmcnt(0)
	buffer_wbinvl1_vol
	v_cmp_eq_u32_e32 vcc, 0, v2
	s_orn2_b64 s[90:91], vcc, exec
	s_or_b64 s[88:89], s[88:89], exec
	s_and_saveexec_b64 s[92:93], s[90:91]
	s_cbranch_execz .LBB4_451
.LBB4_455:                              ;   in Loop: Header=BB4_452 Depth=3
	s_waitcnt vmcnt(0)
	v_cmp_eq_u32_e32 vcc, v60, v19
	v_cmp_eq_u32_e64 s[16:17], v60, v21
	s_and_b64 s[16:17], vcc, s[16:17]
	s_andn2_b64 s[88:89], s[88:89], exec
	s_orn2_b64 s[16:17], s[16:17], exec
	s_branch .LBB4_451
.LBB4_456:                              ;   in Loop: Header=BB4_444 Depth=2
	s_or_b64 exec, exec, s[78:79]
	v_mov_b32_e32 v51, 0
	s_and_saveexec_b64 s[16:17], s[76:77]
	s_xor_b64 s[16:17], exec, s[16:17]
	s_cbranch_execz .LBB4_458
; %bb.457:                              ;   in Loop: Header=BB4_444 Depth=2
	v_mov_b32_e32 v51, 1
	ds_write_b32 v0, v2
	s_trap 2
.LBB4_458:                              ;   in Loop: Header=BB4_444 Depth=2
	s_or_b64 exec, exec, s[16:17]
.LBB4_459:                              ;   in Loop: Header=BB4_444 Depth=2
	s_or_b64 exec, exec, s[74:75]
.LBB4_460:                              ;   in Loop: Header=BB4_444 Depth=2
	s_or_b64 exec, exec, s[72:73]
	s_waitcnt vmcnt(0)
	v_cmp_ne_u16_sdwa s[72:73], v18, v3 src0_sel:BYTE_0 src1_sel:DWORD
	v_mov_b32_e32 v4, 0
	v_mov_b32_e32 v6, 0
	s_and_saveexec_b64 s[16:17], s[72:73]
	s_cbranch_execz .LBB4_468
; %bb.461:                              ;   in Loop: Header=BB4_444 Depth=2
	v_cmp_ne_u16_sdwa s[74:75], sext(v18), s38 src0_sel:BYTE_0 src1_sel:DWORD
	v_bfrev_b32_e32 v6, 1
	s_and_saveexec_b64 s[72:73], s[74:75]
	s_cbranch_execz .LBB4_467
; %bb.462:                              ;   in Loop: Header=BB4_444 Depth=2
	v_and_b32_e32 v6, 0x7c, v18
	v_and_b32_e32 v2, 3, v18
	v_cmp_ne_u32_e32 vcc, s39, v6
                                        ; implicit-def: $vgpr6
	s_and_saveexec_b64 s[74:75], vcc
	s_xor_b64 s[74:75], exec, s[74:75]
	s_cbranch_execz .LBB4_464
; %bb.463:                              ;   in Loop: Header=BB4_444 Depth=2
	v_ffbh_u32_e32 v24, v2
	v_min_u32_e32 v26, 32, v24
	v_bfe_u32 v6, v18, 2, 5
	v_subrev_u32_e32 v24, 29, v26
	v_lshlrev_b64 v[24:25], v24, v[18:19]
	v_sub_u32_e32 v19, 30, v26
	v_cmp_eq_u32_e32 vcc, 0, v6
	v_cndmask_b32_e32 v6, v6, v19, vcc
	v_lshlrev_b32_e32 v19, 24, v18
	v_and_b32_e32 v24, 3, v24
	v_and_b32_e32 v19, 0x80000000, v19
	v_cndmask_b32_e32 v2, v2, v24, vcc
	v_lshl_add_u32 v6, v6, 23, v19
	v_lshl_or_b32 v2, v2, 21, v6
	v_add_u32_e32 v6, 0x38000000, v2
                                        ; implicit-def: $vgpr2
.LBB4_464:                              ;   in Loop: Header=BB4_444 Depth=2
	s_andn2_saveexec_b64 s[74:75], s[74:75]
; %bb.465:                              ;   in Loop: Header=BB4_444 Depth=2
	v_cmp_gt_i16_sdwa vcc, sext(v18), v27 src0_sel:BYTE_0 src1_sel:DWORD
	v_cndmask_b32_e32 v6, v5, v8, vcc
	v_cmp_eq_u32_e32 vcc, 0, v2
	v_cndmask_b32_e32 v6, v9, v6, vcc
; %bb.466:                              ;   in Loop: Header=BB4_444 Depth=2
	s_or_b64 exec, exec, s[74:75]
.LBB4_467:                              ;   in Loop: Header=BB4_444 Depth=2
	s_or_b64 exec, exec, s[72:73]
.LBB4_468:                              ;   in Loop: Header=BB4_444 Depth=2
	s_or_b64 exec, exec, s[16:17]
	v_lshlrev_b32_e32 v33, 3, v10
	v_alignbit_b32 v2, v35, v0, v33
	v_cmp_ne_u16_sdwa s[72:73], v2, v3 src0_sel:BYTE_0 src1_sel:DWORD
	s_and_saveexec_b64 s[16:17], s[72:73]
	s_cbranch_execz .LBB4_476
; %bb.469:                              ;   in Loop: Header=BB4_444 Depth=2
	v_cmp_ne_u16_sdwa s[74:75], sext(v2), s38 src0_sel:BYTE_0 src1_sel:DWORD
	v_bfrev_b32_e32 v4, 1
	s_and_saveexec_b64 s[72:73], s[74:75]
	s_cbranch_execz .LBB4_475
; %bb.470:                              ;   in Loop: Header=BB4_444 Depth=2
	v_and_b32_e32 v4, 0x7c, v2
	v_and_b32_e32 v0, 3, v2
	v_cmp_ne_u32_e32 vcc, s39, v4
                                        ; implicit-def: $vgpr4
	s_and_saveexec_b64 s[74:75], vcc
	s_xor_b64 s[74:75], exec, s[74:75]
	s_cbranch_execz .LBB4_472
; %bb.471:                              ;   in Loop: Header=BB4_444 Depth=2
	v_ffbh_u32_e32 v19, v0
	v_min_u32_e32 v19, 32, v19
	v_bfe_u32 v4, v2, 2, 5
	v_subrev_u32_e32 v24, 29, v19
	v_lshlrev_b64 v[24:25], v24, v[2:3]
	v_sub_u32_e32 v19, 30, v19
	v_cmp_eq_u32_e32 vcc, 0, v4
	v_cndmask_b32_e32 v4, v4, v19, vcc
	v_lshlrev_b32_e32 v19, 24, v2
	v_and_b32_e32 v24, 3, v24
	v_and_b32_e32 v19, 0x80000000, v19
	v_cndmask_b32_e32 v0, v0, v24, vcc
	v_lshl_add_u32 v4, v4, 23, v19
	v_lshl_or_b32 v0, v0, 21, v4
	v_add_u32_e32 v4, 0x38000000, v0
                                        ; implicit-def: $vgpr0
.LBB4_472:                              ;   in Loop: Header=BB4_444 Depth=2
	s_andn2_saveexec_b64 s[74:75], s[74:75]
; %bb.473:                              ;   in Loop: Header=BB4_444 Depth=2
	v_cmp_gt_i16_sdwa vcc, sext(v2), v27 src0_sel:BYTE_0 src1_sel:DWORD
	v_cndmask_b32_e32 v4, v5, v8, vcc
	v_cmp_eq_u32_e32 vcc, 0, v0
	v_cndmask_b32_e32 v4, v9, v4, vcc
; %bb.474:                              ;   in Loop: Header=BB4_444 Depth=2
	s_or_b64 exec, exec, s[74:75]
.LBB4_475:                              ;   in Loop: Header=BB4_444 Depth=2
	s_or_b64 exec, exec, s[72:73]
.LBB4_476:                              ;   in Loop: Header=BB4_444 Depth=2
	s_or_b64 exec, exec, s[16:17]
	v_mul_f32_e32 v4, v6, v4
	v_and_b32_e32 v24, 0x7f800000, v4
	v_mov_b32_e32 v25, v3
	v_cmp_ne_u64_e32 vcc, s[56:57], v[24:25]
	v_and_b32_e32 v30, 0x7fffff, v4
	v_mov_b32_e32 v31, v3
                                        ; implicit-def: $vgpr26
	s_and_saveexec_b64 s[16:17], vcc
	s_xor_b64 s[72:73], exec, s[16:17]
	s_cbranch_execz .LBB4_490
; %bb.477:                              ;   in Loop: Header=BB4_444 Depth=2
	v_and_b32_e32 v24, 0x7fffffff, v4
	v_mov_b32_e32 v25, v3
	v_cmp_gt_u64_e32 vcc, s[58:59], v[24:25]
	v_and_b32_sdwa v0, v4, s48 dst_sel:DWORD dst_unused:UNUSED_PAD src0_sel:BYTE_3 src1_sel:DWORD
                                        ; implicit-def: $vgpr26
	s_and_saveexec_b64 s[16:17], vcc
	s_xor_b64 s[74:75], exec, s[16:17]
	s_cbranch_execz .LBB4_487
; %bb.478:                              ;   in Loop: Header=BB4_444 Depth=2
	v_mov_b32_e32 v26, 0
	v_cmp_ne_u32_e32 vcc, 0, v4
	s_and_saveexec_b64 s[76:77], vcc
	s_cbranch_execz .LBB4_486
; %bb.479:                              ;   in Loop: Header=BB4_444 Depth=2
	v_bfe_u32 v4, v4, 23, 8
	v_cmp_gt_u32_e64 s[16:17], s49, v4
	v_sub_u32_e32 v6, 0x71, v4
	v_cmp_eq_u32_e32 vcc, 0, v4
	v_cndmask_b32_e64 v6, 0, v6, s[16:17]
	v_or_b32_e32 v19, 0x800000, v30
	v_cndmask_b32_e32 v6, v6, v40, vcc
	v_cndmask_b32_e32 v30, v19, v30, vcc
	v_add_u32_e32 v19, 21, v6
	v_lshlrev_b64 v[24:25], v19, -1
	v_add_u32_e32 v19, 20, v6
	v_bfi_b32 v24, v24, 0, v30
	v_lshlrev_b64 v[46:47], v19, 1
	v_lshrrev_b64 v[30:31], v6, v[30:31]
	v_bfi_b32 v25, v25, 0, 0
	v_cmp_eq_u64_e64 s[16:17], v[24:25], v[46:47]
	v_mov_b32_e32 v32, v31
	v_mov_b32_e32 v31, v30
	s_and_saveexec_b64 s[78:79], s[16:17]
; %bb.480:                              ;   in Loop: Header=BB4_444 Depth=2
	v_bfe_u32 v19, v30, 21, 1
	v_add_co_u32_e64 v19, s[16:17], v30, v19
	v_add_co_u32_e64 v31, s[16:17], -1, v19
; %bb.481:                              ;   in Loop: Header=BB4_444 Depth=2
	s_or_b64 exec, exec, s[78:79]
	v_add_u32_e32 v4, 0xffffff81, v4
	v_cndmask_b32_e32 v4, v4, v41, vcc
	v_lshrrev_b32_e32 v19, 23, v30
	v_add3_u32 v19, v6, v4, v19
	v_add_u32_e32 v6, 14, v19
	v_and_b32_e32 v4, 0x1fffff, v31
	v_add_u32_e32 v30, v4, v30
	v_mov_b32_e32 v31, v3
	v_cmp_ne_u32_e32 vcc, 0, v6
                                        ; implicit-def: $vgpr4
	s_and_saveexec_b64 s[16:17], vcc
	s_xor_b64 s[16:17], exec, s[16:17]
; %bb.482:                              ;   in Loop: Header=BB4_444 Depth=2
	v_cmp_lt_u64_e32 vcc, s[60:61], v[30:31]
	v_add_u32_e32 v4, 15, v19
	v_cndmask_b32_e32 v4, v6, v4, vcc
	v_cndmask_b32_e64 v6, 0, 1, vcc
	v_lshrrev_b64 v[30:31], v6, v[30:31]
; %bb.483:                              ;   in Loop: Header=BB4_444 Depth=2
	s_andn2_saveexec_b64 s[16:17], s[16:17]
; %bb.484:                              ;   in Loop: Header=BB4_444 Depth=2
	v_bfe_u32 v4, v30, 23, 1
; %bb.485:                              ;   in Loop: Header=BB4_444 Depth=2
	s_or_b64 exec, exec, s[16:17]
	v_lshrrev_b64 v[24:25], 21, v[30:31]
	v_cmp_gt_i32_e32 vcc, 32, v4
	v_cndmask_b32_e32 v25, 0, v25, vcc
	v_cndmask_b32_e32 v24, 3, v24, vcc
	v_cmp_eq_u32_e32 vcc, 0, v4
	v_min_i32_e32 v4, 31, v4
	v_cmp_eq_u64_e64 s[16:17], 0, v[24:25]
	v_lshlrev_b32_e32 v4, 2, v4
	v_and_b32_e32 v4, 0xfc, v4
	v_and_or_b32 v4, v24, 3, v4
	s_and_b64 s[16:17], vcc, s[16:17]
	v_cndmask_b32_e64 v4, v4, 0, s[16:17]
	v_or_b32_e32 v26, v4, v0
.LBB4_486:                              ;   in Loop: Header=BB4_444 Depth=2
	s_or_b64 exec, exec, s[76:77]
                                        ; implicit-def: $vgpr0
.LBB4_487:                              ;   in Loop: Header=BB4_444 Depth=2
	s_andn2_saveexec_b64 s[16:17], s[74:75]
; %bb.488:                              ;   in Loop: Header=BB4_444 Depth=2
	v_or_b32_e32 v26, 0x7b, v0
; %bb.489:                              ;   in Loop: Header=BB4_444 Depth=2
	s_or_b64 exec, exec, s[16:17]
                                        ; implicit-def: $vgpr4
                                        ; implicit-def: $vgpr30_vgpr31
.LBB4_490:                              ;   in Loop: Header=BB4_444 Depth=2
	s_andn2_saveexec_b64 s[16:17], s[72:73]
	s_cbranch_execz .LBB4_496
; %bb.491:                              ;   in Loop: Header=BB4_444 Depth=2
	v_cmp_ne_u64_e32 vcc, 0, v[30:31]
                                        ; implicit-def: $vgpr26
	s_and_saveexec_b64 s[72:73], vcc
	s_xor_b64 s[72:73], exec, s[72:73]
; %bb.492:                              ;   in Loop: Header=BB4_444 Depth=2
	v_or_b32_sdwa v26, v4, s50 dst_sel:DWORD dst_unused:UNUSED_PAD src0_sel:BYTE_3 src1_sel:DWORD
                                        ; implicit-def: $vgpr4
; %bb.493:                              ;   in Loop: Header=BB4_444 Depth=2
	s_andn2_saveexec_b64 s[72:73], s[72:73]
; %bb.494:                              ;   in Loop: Header=BB4_444 Depth=2
	v_cmp_lt_i32_e32 vcc, -1, v4
	v_cndmask_b32_e32 v26, v12, v50, vcc
; %bb.495:                              ;   in Loop: Header=BB4_444 Depth=2
	s_or_b64 exec, exec, s[72:73]
.LBB4_496:                              ;   in Loop: Header=BB4_444 Depth=2
	s_or_b64 exec, exec, s[16:17]
	v_lshrrev_b16_e32 v30, 8, v18
	v_cmp_ne_u16_e32 vcc, 0, v30
	v_mov_b32_e32 v0, 0
	v_mov_b32_e32 v4, 0
	s_and_saveexec_b64 s[16:17], vcc
	s_cbranch_execz .LBB4_504
; %bb.497:                              ;   in Loop: Header=BB4_444 Depth=2
	v_cmp_ne_u16_e32 vcc, s48, v30
	v_bfrev_b32_e32 v4, 1
	s_and_saveexec_b64 s[72:73], vcc
	s_cbranch_execz .LBB4_503
; %bb.498:                              ;   in Loop: Header=BB4_444 Depth=2
	v_and_b32_e32 v4, 0x7c, v30
	v_and_b32_e32 v6, 3, v30
	v_cmp_ne_u32_e32 vcc, s39, v4
                                        ; implicit-def: $vgpr4
	s_and_saveexec_b64 s[74:75], vcc
	s_xor_b64 s[74:75], exec, s[74:75]
	s_cbranch_execz .LBB4_500
; %bb.499:                              ;   in Loop: Header=BB4_444 Depth=2
	v_ffbh_u32_e32 v19, v6
	v_min_u32_e32 v19, 32, v19
	v_mov_b32_e32 v31, v3
	v_bfe_u32 v4, v30, 2, 5
	v_subrev_u32_e32 v24, 29, v19
	v_lshlrev_b64 v[24:25], v24, v[30:31]
	v_sub_u32_e32 v19, 30, v19
	v_cmp_eq_u32_e32 vcc, 0, v4
	v_cndmask_b32_e32 v4, v4, v19, vcc
	v_lshlrev_b32_e32 v19, 16, v18
	v_and_b32_e32 v24, 3, v24
	v_and_b32_e32 v19, 0x80000000, v19
	v_cndmask_b32_e32 v6, v6, v24, vcc
	v_lshl_add_u32 v4, v4, 23, v19
	v_lshl_or_b32 v4, v6, 21, v4
	v_add_u32_e32 v4, 0x38000000, v4
                                        ; implicit-def: $vgpr6
.LBB4_500:                              ;   in Loop: Header=BB4_444 Depth=2
	s_andn2_saveexec_b64 s[74:75], s[74:75]
; %bb.501:                              ;   in Loop: Header=BB4_444 Depth=2
	v_cmp_lt_i16_e32 vcc, -1, v18
	v_cndmask_b32_e32 v4, v5, v8, vcc
	v_cmp_eq_u32_e32 vcc, 0, v6
	v_cndmask_b32_e32 v4, v9, v4, vcc
; %bb.502:                              ;   in Loop: Header=BB4_444 Depth=2
	s_or_b64 exec, exec, s[74:75]
.LBB4_503:                              ;   in Loop: Header=BB4_444 Depth=2
	s_or_b64 exec, exec, s[72:73]
.LBB4_504:                              ;   in Loop: Header=BB4_444 Depth=2
	s_or_b64 exec, exec, s[16:17]
	v_lshrrev_b16_e32 v30, 8, v2
	v_cmp_ne_u16_e32 vcc, 0, v30
	s_and_saveexec_b64 s[16:17], vcc
	s_cbranch_execz .LBB4_512
; %bb.505:                              ;   in Loop: Header=BB4_444 Depth=2
	v_cmp_ne_u16_e32 vcc, s48, v30
	v_bfrev_b32_e32 v0, 1
	s_and_saveexec_b64 s[72:73], vcc
	s_cbranch_execz .LBB4_511
; %bb.506:                              ;   in Loop: Header=BB4_444 Depth=2
	v_and_b32_e32 v0, 0x7c, v30
	v_and_b32_e32 v6, 3, v30
	v_cmp_ne_u32_e32 vcc, s39, v0
                                        ; implicit-def: $vgpr0
	s_and_saveexec_b64 s[74:75], vcc
	s_xor_b64 s[74:75], exec, s[74:75]
	s_cbranch_execz .LBB4_508
; %bb.507:                              ;   in Loop: Header=BB4_444 Depth=2
	v_ffbh_u32_e32 v19, v6
	v_min_u32_e32 v19, 32, v19
	v_mov_b32_e32 v31, v3
	v_bfe_u32 v0, v30, 2, 5
	v_subrev_u32_e32 v24, 29, v19
	v_lshlrev_b64 v[24:25], v24, v[30:31]
	v_sub_u32_e32 v19, 30, v19
	v_cmp_eq_u32_e32 vcc, 0, v0
	v_cndmask_b32_e32 v0, v0, v19, vcc
	v_lshlrev_b32_e32 v19, 16, v2
	v_and_b32_e32 v24, 3, v24
	v_and_b32_e32 v19, 0x80000000, v19
	v_cndmask_b32_e32 v6, v6, v24, vcc
	v_lshl_add_u32 v0, v0, 23, v19
	v_lshl_or_b32 v0, v6, 21, v0
	v_add_u32_e32 v0, 0x38000000, v0
                                        ; implicit-def: $vgpr6
.LBB4_508:                              ;   in Loop: Header=BB4_444 Depth=2
	s_andn2_saveexec_b64 s[74:75], s[74:75]
; %bb.509:                              ;   in Loop: Header=BB4_444 Depth=2
	v_cmp_lt_i16_e32 vcc, -1, v2
	v_cndmask_b32_e32 v0, v5, v8, vcc
	v_cmp_eq_u32_e32 vcc, 0, v6
	v_cndmask_b32_e32 v0, v9, v0, vcc
; %bb.510:                              ;   in Loop: Header=BB4_444 Depth=2
	s_or_b64 exec, exec, s[74:75]
.LBB4_511:                              ;   in Loop: Header=BB4_444 Depth=2
	s_or_b64 exec, exec, s[72:73]
.LBB4_512:                              ;   in Loop: Header=BB4_444 Depth=2
	s_or_b64 exec, exec, s[16:17]
	v_mul_f32_e32 v4, v4, v0
	v_and_b32_e32 v24, 0x7f800000, v4
	v_mov_b32_e32 v25, v3
	v_cmp_ne_u64_e32 vcc, s[56:57], v[24:25]
	v_and_b32_e32 v30, 0x7fffff, v4
	v_mov_b32_e32 v31, v3
                                        ; implicit-def: $vgpr6
	s_and_saveexec_b64 s[16:17], vcc
	s_xor_b64 s[72:73], exec, s[16:17]
	s_cbranch_execz .LBB4_526
; %bb.513:                              ;   in Loop: Header=BB4_444 Depth=2
	v_and_b32_e32 v24, 0x7fffffff, v4
	v_mov_b32_e32 v25, v3
	v_cmp_gt_u64_e32 vcc, s[58:59], v[24:25]
	v_and_b32_sdwa v0, v4, s48 dst_sel:DWORD dst_unused:UNUSED_PAD src0_sel:BYTE_3 src1_sel:DWORD
                                        ; implicit-def: $vgpr6
	s_and_saveexec_b64 s[16:17], vcc
	s_xor_b64 s[74:75], exec, s[16:17]
	s_cbranch_execz .LBB4_523
; %bb.514:                              ;   in Loop: Header=BB4_444 Depth=2
	v_mov_b32_e32 v6, 0
	v_cmp_ne_u32_e32 vcc, 0, v4
	s_and_saveexec_b64 s[76:77], vcc
	s_cbranch_execz .LBB4_522
; %bb.515:                              ;   in Loop: Header=BB4_444 Depth=2
	v_bfe_u32 v4, v4, 23, 8
	v_cmp_gt_u32_e64 s[16:17], s49, v4
	v_sub_u32_e32 v6, 0x71, v4
	v_cmp_eq_u32_e32 vcc, 0, v4
	v_cndmask_b32_e64 v6, 0, v6, s[16:17]
	v_or_b32_e32 v19, 0x800000, v30
	v_cndmask_b32_e32 v6, v6, v40, vcc
	v_cndmask_b32_e32 v30, v19, v30, vcc
	v_add_u32_e32 v19, 21, v6
	v_lshlrev_b64 v[24:25], v19, -1
	v_add_u32_e32 v19, 20, v6
	v_bfi_b32 v24, v24, 0, v30
	v_lshlrev_b64 v[46:47], v19, 1
	v_lshrrev_b64 v[30:31], v6, v[30:31]
	v_bfi_b32 v25, v25, 0, 0
	v_cmp_eq_u64_e64 s[16:17], v[24:25], v[46:47]
	v_mov_b32_e32 v32, v31
	v_mov_b32_e32 v31, v30
	s_and_saveexec_b64 s[78:79], s[16:17]
; %bb.516:                              ;   in Loop: Header=BB4_444 Depth=2
	v_bfe_u32 v19, v30, 21, 1
	v_add_co_u32_e64 v19, s[16:17], v30, v19
	v_add_co_u32_e64 v31, s[16:17], -1, v19
; %bb.517:                              ;   in Loop: Header=BB4_444 Depth=2
	s_or_b64 exec, exec, s[78:79]
	v_add_u32_e32 v4, 0xffffff81, v4
	v_cndmask_b32_e32 v4, v4, v41, vcc
	v_lshrrev_b32_e32 v19, 23, v30
	v_add3_u32 v19, v6, v4, v19
	v_add_u32_e32 v6, 14, v19
	v_and_b32_e32 v4, 0x1fffff, v31
	v_add_u32_e32 v30, v4, v30
	v_mov_b32_e32 v31, v3
	v_cmp_ne_u32_e32 vcc, 0, v6
                                        ; implicit-def: $vgpr4
	s_and_saveexec_b64 s[16:17], vcc
	s_xor_b64 s[16:17], exec, s[16:17]
; %bb.518:                              ;   in Loop: Header=BB4_444 Depth=2
	v_cmp_lt_u64_e32 vcc, s[60:61], v[30:31]
	v_add_u32_e32 v4, 15, v19
	v_cndmask_b32_e32 v4, v6, v4, vcc
	v_cndmask_b32_e64 v6, 0, 1, vcc
	v_lshrrev_b64 v[30:31], v6, v[30:31]
; %bb.519:                              ;   in Loop: Header=BB4_444 Depth=2
	s_andn2_saveexec_b64 s[16:17], s[16:17]
; %bb.520:                              ;   in Loop: Header=BB4_444 Depth=2
	v_bfe_u32 v4, v30, 23, 1
; %bb.521:                              ;   in Loop: Header=BB4_444 Depth=2
	s_or_b64 exec, exec, s[16:17]
	v_lshrrev_b64 v[24:25], 21, v[30:31]
	v_cmp_gt_i32_e32 vcc, 32, v4
	v_cndmask_b32_e32 v25, 0, v25, vcc
	v_cndmask_b32_e32 v24, 3, v24, vcc
	v_cmp_eq_u32_e32 vcc, 0, v4
	v_min_i32_e32 v4, 31, v4
	v_cmp_eq_u64_e64 s[16:17], 0, v[24:25]
	v_lshlrev_b32_e32 v4, 2, v4
	v_and_b32_e32 v4, 0xfc, v4
	v_and_or_b32 v4, v24, 3, v4
	s_and_b64 s[16:17], vcc, s[16:17]
	v_cndmask_b32_e64 v4, v4, 0, s[16:17]
	v_or_b32_e32 v6, v4, v0
.LBB4_522:                              ;   in Loop: Header=BB4_444 Depth=2
	s_or_b64 exec, exec, s[76:77]
                                        ; implicit-def: $vgpr0
.LBB4_523:                              ;   in Loop: Header=BB4_444 Depth=2
	s_andn2_saveexec_b64 s[16:17], s[74:75]
; %bb.524:                              ;   in Loop: Header=BB4_444 Depth=2
	v_or_b32_e32 v6, 0x7b, v0
; %bb.525:                              ;   in Loop: Header=BB4_444 Depth=2
	s_or_b64 exec, exec, s[16:17]
                                        ; implicit-def: $vgpr4
                                        ; implicit-def: $vgpr30_vgpr31
.LBB4_526:                              ;   in Loop: Header=BB4_444 Depth=2
	s_andn2_saveexec_b64 s[16:17], s[72:73]
	s_cbranch_execz .LBB4_532
; %bb.527:                              ;   in Loop: Header=BB4_444 Depth=2
	v_cmp_ne_u64_e32 vcc, 0, v[30:31]
                                        ; implicit-def: $vgpr6
	s_and_saveexec_b64 s[72:73], vcc
	s_xor_b64 s[72:73], exec, s[72:73]
; %bb.528:                              ;   in Loop: Header=BB4_444 Depth=2
	v_or_b32_sdwa v6, v4, s50 dst_sel:DWORD dst_unused:UNUSED_PAD src0_sel:BYTE_3 src1_sel:DWORD
                                        ; implicit-def: $vgpr4
; %bb.529:                              ;   in Loop: Header=BB4_444 Depth=2
	s_andn2_saveexec_b64 s[72:73], s[72:73]
; %bb.530:                              ;   in Loop: Header=BB4_444 Depth=2
	v_cmp_lt_i32_e32 vcc, -1, v4
	v_cndmask_b32_e32 v6, v12, v50, vcc
; %bb.531:                              ;   in Loop: Header=BB4_444 Depth=2
	s_or_b64 exec, exec, s[72:73]
.LBB4_532:                              ;   in Loop: Header=BB4_444 Depth=2
	s_or_b64 exec, exec, s[16:17]
	v_lshrrev_b32_e32 v0, 16, v18
	v_cmp_ne_u16_sdwa s[72:73], v0, v3 src0_sel:BYTE_0 src1_sel:DWORD
	v_mov_b32_e32 v19, 0
	v_mov_b32_e32 v4, 0
	s_and_saveexec_b64 s[16:17], s[72:73]
	s_cbranch_execz .LBB4_540
; %bb.533:                              ;   in Loop: Header=BB4_444 Depth=2
	v_cmp_ne_u16_sdwa s[74:75], v0, s48 src0_sel:BYTE_0 src1_sel:DWORD
	v_bfrev_b32_e32 v4, 1
	s_and_saveexec_b64 s[72:73], s[74:75]
	s_cbranch_execz .LBB4_539
; %bb.534:                              ;   in Loop: Header=BB4_444 Depth=2
	v_and_b32_e32 v4, 0x7c0000, v18
	v_bfe_u32 v24, v18, 16, 2
	v_cmp_ne_u32_e32 vcc, s51, v4
                                        ; implicit-def: $vgpr4
	s_and_saveexec_b64 s[74:75], vcc
	s_xor_b64 s[74:75], exec, s[74:75]
	s_cbranch_execz .LBB4_536
; %bb.535:                              ;   in Loop: Header=BB4_444 Depth=2
	v_ffbh_u32_e32 v25, v24
	v_min_u32_e32 v25, 32, v25
	v_subrev_u32_e32 v30, 29, v25
	v_lshlrev_b64 v[30:31], v30, v[0:1]
	v_bfe_u32 v4, v18, 18, 5
	v_sub_u32_e32 v0, 30, v25
	v_and_b32_e32 v25, 3, v30
	v_cmp_eq_u32_e32 vcc, 0, v4
	v_cndmask_b32_e32 v0, v4, v0, vcc
	v_cndmask_b32_e32 v4, v24, v25, vcc
	v_lshlrev_b32_e32 v24, 8, v18
	v_and_b32_e32 v24, 0x80000000, v24
	v_lshl_add_u32 v0, v0, 23, v24
	v_lshl_or_b32 v0, v4, 21, v0
	v_add_u32_e32 v4, 0x38000000, v0
                                        ; implicit-def: $vgpr24
                                        ; implicit-def: $vgpr0
.LBB4_536:                              ;   in Loop: Header=BB4_444 Depth=2
	s_andn2_saveexec_b64 s[74:75], s[74:75]
; %bb.537:                              ;   in Loop: Header=BB4_444 Depth=2
	v_cmp_gt_i16_sdwa vcc, sext(v0), v27 src0_sel:BYTE_0 src1_sel:DWORD
	v_cndmask_b32_e32 v0, v5, v8, vcc
	v_cmp_eq_u32_e32 vcc, 0, v24
	v_cndmask_b32_e32 v4, v9, v0, vcc
; %bb.538:                              ;   in Loop: Header=BB4_444 Depth=2
	s_or_b64 exec, exec, s[74:75]
.LBB4_539:                              ;   in Loop: Header=BB4_444 Depth=2
	s_or_b64 exec, exec, s[72:73]
.LBB4_540:                              ;   in Loop: Header=BB4_444 Depth=2
	s_or_b64 exec, exec, s[16:17]
	v_and_b32_sdwa v24, v2, s37 dst_sel:DWORD dst_unused:UNUSED_PAD src0_sel:WORD_1 src1_sel:DWORD
	v_lshrrev_b32_e32 v0, 16, v2
	v_cmp_ne_u16_e32 vcc, 0, v24
	s_and_saveexec_b64 s[16:17], vcc
	s_cbranch_execz .LBB4_548
; %bb.541:                              ;   in Loop: Header=BB4_444 Depth=2
	v_cmp_ne_u16_e32 vcc, s48, v24
	v_bfrev_b32_e32 v19, 1
	s_and_saveexec_b64 s[72:73], vcc
	s_cbranch_execz .LBB4_547
; %bb.542:                              ;   in Loop: Header=BB4_444 Depth=2
	v_and_b32_e32 v19, 0x7c0000, v2
	v_bfe_u32 v24, v2, 16, 2
	v_cmp_ne_u32_e32 vcc, s51, v19
                                        ; implicit-def: $vgpr19
	s_and_saveexec_b64 s[74:75], vcc
	s_xor_b64 s[74:75], exec, s[74:75]
	s_cbranch_execz .LBB4_544
; %bb.543:                              ;   in Loop: Header=BB4_444 Depth=2
	v_ffbh_u32_e32 v25, v24
	v_min_u32_e32 v25, 32, v25
	v_lshrrev_b32_e32 v0, 16, v2
	v_subrev_u32_e32 v30, 29, v25
	v_lshlrev_b64 v[30:31], v30, v[0:1]
	v_bfe_u32 v19, v2, 18, 5
	v_sub_u32_e32 v0, 30, v25
	v_and_b32_e32 v25, 3, v30
	v_cmp_eq_u32_e32 vcc, 0, v19
	v_cndmask_b32_e32 v0, v19, v0, vcc
	v_cndmask_b32_e32 v19, v24, v25, vcc
	v_lshlrev_b32_e32 v24, 8, v2
	v_and_b32_e32 v24, 0x80000000, v24
	v_lshl_add_u32 v0, v0, 23, v24
	v_lshl_or_b32 v0, v19, 21, v0
	v_add_u32_e32 v19, 0x38000000, v0
                                        ; implicit-def: $vgpr24
                                        ; implicit-def: $vgpr0
.LBB4_544:                              ;   in Loop: Header=BB4_444 Depth=2
	s_andn2_saveexec_b64 s[74:75], s[74:75]
; %bb.545:                              ;   in Loop: Header=BB4_444 Depth=2
	v_cmp_gt_i16_sdwa vcc, sext(v0), v27 src0_sel:BYTE_0 src1_sel:DWORD
	v_cndmask_b32_e32 v0, v5, v8, vcc
	v_cmp_eq_u32_e32 vcc, 0, v24
	v_cndmask_b32_e32 v19, v9, v0, vcc
; %bb.546:                              ;   in Loop: Header=BB4_444 Depth=2
	s_or_b64 exec, exec, s[74:75]
.LBB4_547:                              ;   in Loop: Header=BB4_444 Depth=2
	s_or_b64 exec, exec, s[72:73]
.LBB4_548:                              ;   in Loop: Header=BB4_444 Depth=2
	s_or_b64 exec, exec, s[16:17]
	v_mul_f32_e32 v4, v4, v19
	v_and_b32_e32 v24, 0x7f800000, v4
	v_mov_b32_e32 v25, v3
	v_cmp_ne_u64_e32 vcc, s[56:57], v[24:25]
	v_and_b32_e32 v30, 0x7fffff, v4
	v_mov_b32_e32 v31, v3
                                        ; implicit-def: $vgpr32
	s_and_saveexec_b64 s[16:17], vcc
	s_xor_b64 s[72:73], exec, s[16:17]
	s_cbranch_execz .LBB4_562
; %bb.549:                              ;   in Loop: Header=BB4_444 Depth=2
	v_and_b32_e32 v24, 0x7fffffff, v4
	v_mov_b32_e32 v25, v3
	v_cmp_gt_u64_e32 vcc, s[58:59], v[24:25]
	v_and_b32_sdwa v0, v4, s48 dst_sel:DWORD dst_unused:UNUSED_PAD src0_sel:BYTE_3 src1_sel:DWORD
                                        ; implicit-def: $vgpr32
	s_and_saveexec_b64 s[16:17], vcc
	s_xor_b64 s[74:75], exec, s[16:17]
	s_cbranch_execz .LBB4_559
; %bb.550:                              ;   in Loop: Header=BB4_444 Depth=2
	v_mov_b32_e32 v32, 0
	v_cmp_ne_u32_e32 vcc, 0, v4
	s_and_saveexec_b64 s[76:77], vcc
	s_cbranch_execz .LBB4_558
; %bb.551:                              ;   in Loop: Header=BB4_444 Depth=2
	v_bfe_u32 v4, v4, 23, 8
	v_cmp_gt_u32_e64 s[16:17], s49, v4
	v_sub_u32_e32 v19, 0x71, v4
	v_cmp_eq_u32_e32 vcc, 0, v4
	v_cndmask_b32_e64 v19, 0, v19, s[16:17]
	v_or_b32_e32 v24, 0x800000, v30
	v_cndmask_b32_e32 v19, v19, v40, vcc
	v_cndmask_b32_e32 v30, v24, v30, vcc
	v_add_u32_e32 v24, 21, v19
	v_lshlrev_b64 v[24:25], v24, -1
	v_add_u32_e32 v32, 20, v19
	v_bfi_b32 v24, v24, 0, v30
	v_lshlrev_b64 v[46:47], v32, 1
	v_lshrrev_b64 v[30:31], v19, v[30:31]
	v_bfi_b32 v25, v25, 0, 0
	v_cmp_eq_u64_e64 s[16:17], v[24:25], v[46:47]
	v_mov_b32_e32 v32, v31
	v_mov_b32_e32 v31, v30
	s_and_saveexec_b64 s[78:79], s[16:17]
; %bb.552:                              ;   in Loop: Header=BB4_444 Depth=2
	v_bfe_u32 v24, v30, 21, 1
	v_add_co_u32_e64 v24, s[16:17], v30, v24
	v_add_co_u32_e64 v31, s[16:17], -1, v24
; %bb.553:                              ;   in Loop: Header=BB4_444 Depth=2
	s_or_b64 exec, exec, s[78:79]
	v_add_u32_e32 v4, 0xffffff81, v4
	v_cndmask_b32_e32 v4, v4, v41, vcc
	v_lshrrev_b32_e32 v24, 23, v30
	v_add3_u32 v24, v19, v4, v24
	v_add_u32_e32 v19, 14, v24
	v_and_b32_e32 v4, 0x1fffff, v31
	v_add_u32_e32 v30, v4, v30
	v_mov_b32_e32 v31, v3
	v_cmp_ne_u32_e32 vcc, 0, v19
                                        ; implicit-def: $vgpr4
	s_and_saveexec_b64 s[16:17], vcc
	s_xor_b64 s[16:17], exec, s[16:17]
; %bb.554:                              ;   in Loop: Header=BB4_444 Depth=2
	v_cmp_lt_u64_e32 vcc, s[60:61], v[30:31]
	v_add_u32_e32 v4, 15, v24
	v_cndmask_b32_e32 v4, v19, v4, vcc
	v_cndmask_b32_e64 v19, 0, 1, vcc
	v_lshrrev_b64 v[30:31], v19, v[30:31]
; %bb.555:                              ;   in Loop: Header=BB4_444 Depth=2
	s_andn2_saveexec_b64 s[16:17], s[16:17]
; %bb.556:                              ;   in Loop: Header=BB4_444 Depth=2
	v_bfe_u32 v4, v30, 23, 1
; %bb.557:                              ;   in Loop: Header=BB4_444 Depth=2
	s_or_b64 exec, exec, s[16:17]
	v_lshrrev_b64 v[24:25], 21, v[30:31]
	v_cmp_gt_i32_e32 vcc, 32, v4
	v_cndmask_b32_e32 v25, 0, v25, vcc
	v_cndmask_b32_e32 v24, 3, v24, vcc
	v_cmp_eq_u32_e32 vcc, 0, v4
	v_min_i32_e32 v4, 31, v4
	v_cmp_eq_u64_e64 s[16:17], 0, v[24:25]
	v_lshlrev_b32_e32 v4, 2, v4
	v_and_b32_e32 v4, 0xfc, v4
	v_and_or_b32 v4, v24, 3, v4
	s_and_b64 s[16:17], vcc, s[16:17]
	v_cndmask_b32_e64 v4, v4, 0, s[16:17]
	v_or_b32_e32 v32, v4, v0
.LBB4_558:                              ;   in Loop: Header=BB4_444 Depth=2
	s_or_b64 exec, exec, s[76:77]
                                        ; implicit-def: $vgpr0
.LBB4_559:                              ;   in Loop: Header=BB4_444 Depth=2
	s_andn2_saveexec_b64 s[16:17], s[74:75]
; %bb.560:                              ;   in Loop: Header=BB4_444 Depth=2
	v_or_b32_e32 v32, 0x7b, v0
; %bb.561:                              ;   in Loop: Header=BB4_444 Depth=2
	s_or_b64 exec, exec, s[16:17]
                                        ; implicit-def: $vgpr4
                                        ; implicit-def: $vgpr30_vgpr31
.LBB4_562:                              ;   in Loop: Header=BB4_444 Depth=2
	s_andn2_saveexec_b64 s[16:17], s[72:73]
	s_cbranch_execz .LBB4_568
; %bb.563:                              ;   in Loop: Header=BB4_444 Depth=2
	v_cmp_ne_u64_e32 vcc, 0, v[30:31]
                                        ; implicit-def: $vgpr32
	s_and_saveexec_b64 s[72:73], vcc
	s_xor_b64 s[72:73], exec, s[72:73]
; %bb.564:                              ;   in Loop: Header=BB4_444 Depth=2
	v_or_b32_sdwa v32, v4, s50 dst_sel:DWORD dst_unused:UNUSED_PAD src0_sel:BYTE_3 src1_sel:DWORD
                                        ; implicit-def: $vgpr4
; %bb.565:                              ;   in Loop: Header=BB4_444 Depth=2
	s_andn2_saveexec_b64 s[72:73], s[72:73]
; %bb.566:                              ;   in Loop: Header=BB4_444 Depth=2
	v_cmp_lt_i32_e32 vcc, -1, v4
	v_cndmask_b32_e32 v32, v12, v50, vcc
; %bb.567:                              ;   in Loop: Header=BB4_444 Depth=2
	s_or_b64 exec, exec, s[72:73]
.LBB4_568:                              ;   in Loop: Header=BB4_444 Depth=2
	s_or_b64 exec, exec, s[16:17]
	v_cmp_lt_u32_e32 vcc, s47, v18
	v_mov_b32_e32 v4, 0
	v_mov_b32_e32 v19, 0
	s_and_saveexec_b64 s[16:17], vcc
	s_cbranch_execz .LBB4_576
; %bb.569:                              ;   in Loop: Header=BB4_444 Depth=2
	v_lshrrev_b32_e32 v0, 24, v18
	v_cmp_ne_u32_e32 vcc, s48, v0
	v_bfrev_b32_e32 v19, 1
	s_and_saveexec_b64 s[72:73], vcc
	s_cbranch_execz .LBB4_575
; %bb.570:                              ;   in Loop: Header=BB4_444 Depth=2
	v_and_b32_e32 v19, 0x7c000000, v18
	v_bfe_u32 v24, v18, 24, 2
	v_cmp_ne_u32_e32 vcc, s52, v19
                                        ; implicit-def: $vgpr19
	s_and_saveexec_b64 s[74:75], vcc
	s_xor_b64 s[74:75], exec, s[74:75]
	s_cbranch_execz .LBB4_572
; %bb.571:                              ;   in Loop: Header=BB4_444 Depth=2
	v_ffbh_u32_e32 v25, v24
	v_min_u32_e32 v25, 32, v25
	v_subrev_u32_e32 v30, 29, v25
	v_bfe_u32 v19, v18, 26, 5
	v_lshlrev_b64 v[30:31], v30, v[0:1]
	v_sub_u32_e32 v0, 30, v25
	v_cmp_eq_u32_e32 vcc, 0, v19
	v_and_b32_e32 v25, 3, v30
	v_cndmask_b32_e32 v0, v19, v0, vcc
	v_and_b32_e32 v18, 0x80000000, v18
	v_cndmask_b32_e32 v19, v24, v25, vcc
	v_lshl_add_u32 v0, v0, 23, v18
	v_lshl_or_b32 v0, v19, 21, v0
	v_add_u32_e32 v19, 0x38000000, v0
                                        ; implicit-def: $vgpr24
.LBB4_572:                              ;   in Loop: Header=BB4_444 Depth=2
	s_andn2_saveexec_b64 s[74:75], s[74:75]
; %bb.573:                              ;   in Loop: Header=BB4_444 Depth=2
	v_cmp_lt_i32_e32 vcc, -1, v18
	v_cndmask_b32_e32 v0, v5, v8, vcc
	v_cmp_eq_u32_e32 vcc, 0, v24
	v_cndmask_b32_e32 v19, v9, v0, vcc
; %bb.574:                              ;   in Loop: Header=BB4_444 Depth=2
	s_or_b64 exec, exec, s[74:75]
.LBB4_575:                              ;   in Loop: Header=BB4_444 Depth=2
	s_or_b64 exec, exec, s[72:73]
.LBB4_576:                              ;   in Loop: Header=BB4_444 Depth=2
	s_or_b64 exec, exec, s[16:17]
	v_cmp_lt_u32_e32 vcc, s47, v2
	s_and_saveexec_b64 s[16:17], vcc
	s_cbranch_execz .LBB4_584
; %bb.577:                              ;   in Loop: Header=BB4_444 Depth=2
	v_lshrrev_b32_e32 v0, 24, v2
	v_cmp_ne_u32_e32 vcc, s48, v0
	v_bfrev_b32_e32 v4, 1
	s_and_saveexec_b64 s[72:73], vcc
	s_cbranch_execz .LBB4_583
; %bb.578:                              ;   in Loop: Header=BB4_444 Depth=2
	v_and_b32_e32 v4, 0x7c000000, v2
	v_bfe_u32 v18, v2, 24, 2
	v_cmp_ne_u32_e32 vcc, s52, v4
                                        ; implicit-def: $vgpr4
	s_and_saveexec_b64 s[74:75], vcc
	s_xor_b64 s[74:75], exec, s[74:75]
	s_cbranch_execz .LBB4_580
; %bb.579:                              ;   in Loop: Header=BB4_444 Depth=2
	v_ffbh_u32_e32 v24, v18
	v_min_u32_e32 v30, 32, v24
	v_subrev_u32_e32 v24, 29, v30
	v_bfe_u32 v4, v2, 26, 5
	v_lshlrev_b64 v[24:25], v24, v[0:1]
	v_sub_u32_e32 v0, 30, v30
	v_cmp_eq_u32_e32 vcc, 0, v4
	v_and_b32_e32 v24, 3, v24
	v_cndmask_b32_e32 v0, v4, v0, vcc
	v_and_b32_e32 v2, 0x80000000, v2
	v_cndmask_b32_e32 v4, v18, v24, vcc
	v_lshl_add_u32 v0, v0, 23, v2
	v_lshl_or_b32 v0, v4, 21, v0
	v_add_u32_e32 v4, 0x38000000, v0
                                        ; implicit-def: $vgpr18
.LBB4_580:                              ;   in Loop: Header=BB4_444 Depth=2
	s_andn2_saveexec_b64 s[74:75], s[74:75]
; %bb.581:                              ;   in Loop: Header=BB4_444 Depth=2
	v_cmp_lt_i32_e32 vcc, -1, v2
	v_cndmask_b32_e32 v0, v5, v8, vcc
	v_cmp_eq_u32_e32 vcc, 0, v18
	v_cndmask_b32_e32 v4, v9, v0, vcc
; %bb.582:                              ;   in Loop: Header=BB4_444 Depth=2
	s_or_b64 exec, exec, s[74:75]
.LBB4_583:                              ;   in Loop: Header=BB4_444 Depth=2
	s_or_b64 exec, exec, s[72:73]
.LBB4_584:                              ;   in Loop: Header=BB4_444 Depth=2
	s_or_b64 exec, exec, s[16:17]
	v_mul_f32_e32 v18, v19, v4
	v_and_b32_e32 v24, 0x7f800000, v18
	v_mov_b32_e32 v25, v3
	v_cmp_ne_u64_e32 vcc, s[56:57], v[24:25]
	v_and_b32_e32 v2, 0x7fffff, v18
                                        ; implicit-def: $vgpr4
	s_and_saveexec_b64 s[16:17], vcc
	s_xor_b64 s[72:73], exec, s[16:17]
	s_cbranch_execz .LBB4_598
; %bb.585:                              ;   in Loop: Header=BB4_444 Depth=2
	v_and_b32_e32 v24, 0x7fffffff, v18
	v_mov_b32_e32 v25, v3
	v_cmp_gt_u64_e32 vcc, s[58:59], v[24:25]
	v_and_b32_sdwa v0, v18, s48 dst_sel:DWORD dst_unused:UNUSED_PAD src0_sel:BYTE_3 src1_sel:DWORD
                                        ; implicit-def: $vgpr4
	s_and_saveexec_b64 s[16:17], vcc
	s_xor_b64 s[74:75], exec, s[16:17]
	s_cbranch_execz .LBB4_595
; %bb.586:                              ;   in Loop: Header=BB4_444 Depth=2
	v_mov_b32_e32 v4, 0
	v_cmp_ne_u32_e32 vcc, 0, v18
	s_and_saveexec_b64 s[76:77], vcc
	s_cbranch_execz .LBB4_594
; %bb.587:                              ;   in Loop: Header=BB4_444 Depth=2
	v_bfe_u32 v4, v18, 23, 8
	v_cmp_gt_u32_e64 s[16:17], s49, v4
	v_sub_u32_e32 v18, 0x71, v4
	v_cmp_eq_u32_e32 vcc, 0, v4
	v_cndmask_b32_e64 v18, 0, v18, s[16:17]
	v_cndmask_b32_e32 v24, v18, v40, vcc
	v_or_b32_e32 v19, 0x800000, v2
	v_add_u32_e32 v18, 21, v24
	v_cndmask_b32_e32 v2, v19, v2, vcc
	v_lshlrev_b64 v[18:19], v18, -1
	v_add_u32_e32 v25, 20, v24
	v_lshlrev_b64 v[30:31], v25, 1
	v_bfi_b32 v19, v19, 0, 0
	v_bfi_b32 v18, v18, 0, v2
	v_cmp_eq_u64_e64 s[16:17], v[18:19], v[30:31]
	v_lshrrev_b64 v[18:19], v24, v[2:3]
	v_mov_b32_e32 v31, v19
	v_mov_b32_e32 v30, v18
	s_and_saveexec_b64 s[78:79], s[16:17]
; %bb.588:                              ;   in Loop: Header=BB4_444 Depth=2
	v_bfe_u32 v2, v18, 21, 1
	v_add_co_u32_e64 v2, s[16:17], v18, v2
	v_add_co_u32_e64 v30, s[16:17], -1, v2
; %bb.589:                              ;   in Loop: Header=BB4_444 Depth=2
	s_or_b64 exec, exec, s[78:79]
	v_add_u32_e32 v2, 0xffffff81, v4
	v_cndmask_b32_e32 v2, v2, v41, vcc
	v_lshrrev_b32_e32 v4, 23, v18
	v_add3_u32 v25, v24, v2, v4
	v_add_u32_e32 v24, 14, v25
	v_and_b32_e32 v2, 0x1fffff, v30
	v_add_u32_e32 v2, v2, v18
	v_cmp_ne_u32_e32 vcc, 0, v24
                                        ; implicit-def: $vgpr18_vgpr19
                                        ; implicit-def: $vgpr4
	s_and_saveexec_b64 s[16:17], vcc
	s_xor_b64 s[16:17], exec, s[16:17]
; %bb.590:                              ;   in Loop: Header=BB4_444 Depth=2
	v_cmp_lt_u64_e32 vcc, s[60:61], v[2:3]
	v_add_u32_e32 v4, 15, v25
	v_cndmask_b32_e64 v18, 0, 1, vcc
	v_cndmask_b32_e32 v4, v24, v4, vcc
	v_lshrrev_b64 v[18:19], v18, v[2:3]
; %bb.591:                              ;   in Loop: Header=BB4_444 Depth=2
	s_andn2_saveexec_b64 s[16:17], s[16:17]
; %bb.592:                              ;   in Loop: Header=BB4_444 Depth=2
	v_mov_b32_e32 v19, v3
	v_bfe_u32 v4, v2, 23, 1
	v_mov_b32_e32 v18, v2
; %bb.593:                              ;   in Loop: Header=BB4_444 Depth=2
	s_or_b64 exec, exec, s[16:17]
	v_lshrrev_b64 v[18:19], 21, v[18:19]
	v_cmp_gt_i32_e32 vcc, 32, v4
	v_cndmask_b32_e32 v19, 0, v19, vcc
	v_cndmask_b32_e32 v18, 3, v18, vcc
	v_min_i32_e32 v2, 31, v4
	v_cmp_eq_u64_e64 s[16:17], 0, v[18:19]
	v_lshlrev_b32_e32 v2, 2, v2
	v_cmp_eq_u32_e32 vcc, 0, v4
	v_and_b32_e32 v2, 0xfc, v2
	v_and_or_b32 v2, v18, 3, v2
	s_and_b64 s[16:17], vcc, s[16:17]
	v_cndmask_b32_e64 v2, v2, 0, s[16:17]
	v_or_b32_e32 v4, v2, v0
.LBB4_594:                              ;   in Loop: Header=BB4_444 Depth=2
	s_or_b64 exec, exec, s[76:77]
                                        ; implicit-def: $vgpr0
.LBB4_595:                              ;   in Loop: Header=BB4_444 Depth=2
	s_andn2_saveexec_b64 s[16:17], s[74:75]
; %bb.596:                              ;   in Loop: Header=BB4_444 Depth=2
	v_or_b32_e32 v4, 0x7b, v0
; %bb.597:                              ;   in Loop: Header=BB4_444 Depth=2
	s_or_b64 exec, exec, s[16:17]
                                        ; implicit-def: $vgpr18
.LBB4_598:                              ;   in Loop: Header=BB4_444 Depth=2
	s_andn2_saveexec_b64 s[16:17], s[72:73]
	s_cbranch_execz .LBB4_604
; %bb.599:                              ;   in Loop: Header=BB4_444 Depth=2
	v_cmp_ne_u64_e32 vcc, 0, v[2:3]
                                        ; implicit-def: $vgpr4
	s_and_saveexec_b64 s[72:73], vcc
	s_xor_b64 s[72:73], exec, s[72:73]
; %bb.600:                              ;   in Loop: Header=BB4_444 Depth=2
	v_or_b32_sdwa v4, v18, s50 dst_sel:DWORD dst_unused:UNUSED_PAD src0_sel:BYTE_3 src1_sel:DWORD
                                        ; implicit-def: $vgpr18
; %bb.601:                              ;   in Loop: Header=BB4_444 Depth=2
	s_andn2_saveexec_b64 s[72:73], s[72:73]
; %bb.602:                              ;   in Loop: Header=BB4_444 Depth=2
	v_cmp_lt_i32_e32 vcc, -1, v18
	v_cndmask_b32_e32 v4, v12, v50, vcc
; %bb.603:                              ;   in Loop: Header=BB4_444 Depth=2
	s_or_b64 exec, exec, s[72:73]
.LBB4_604:                              ;   in Loop: Header=BB4_444 Depth=2
	s_or_b64 exec, exec, s[16:17]
	v_cmp_ne_u16_sdwa s[72:73], v20, v3 src0_sel:BYTE_0 src1_sel:DWORD
	v_mov_b32_e32 v0, 0
	v_mov_b32_e32 v18, 0
	s_and_saveexec_b64 s[16:17], s[72:73]
	s_cbranch_execz .LBB4_612
; %bb.605:                              ;   in Loop: Header=BB4_444 Depth=2
	v_cmp_ne_u16_sdwa s[74:75], sext(v20), s38 src0_sel:BYTE_0 src1_sel:DWORD
	v_bfrev_b32_e32 v18, 1
	s_and_saveexec_b64 s[72:73], s[74:75]
	s_cbranch_execz .LBB4_611
; %bb.606:                              ;   in Loop: Header=BB4_444 Depth=2
	v_and_b32_e32 v18, 0x7c, v20
	v_and_b32_e32 v2, 3, v20
	v_cmp_ne_u32_e32 vcc, s39, v18
                                        ; implicit-def: $vgpr18
	s_and_saveexec_b64 s[74:75], vcc
	s_xor_b64 s[74:75], exec, s[74:75]
	s_cbranch_execz .LBB4_608
; %bb.607:                              ;   in Loop: Header=BB4_444 Depth=2
	v_ffbh_u32_e32 v18, v2
	v_min_u32_e32 v25, 32, v18
	v_subrev_u32_e32 v18, 29, v25
	v_lshlrev_b64 v[18:19], v18, v[20:21]
	v_bfe_u32 v24, v20, 2, 5
	v_and_b32_e32 v18, 3, v18
	v_cmp_eq_u32_e32 vcc, 0, v24
	v_sub_u32_e32 v19, 30, v25
	v_cndmask_b32_e32 v2, v2, v18, vcc
	v_lshlrev_b32_e32 v18, 24, v20
	v_cndmask_b32_e32 v19, v24, v19, vcc
	v_and_b32_e32 v18, 0x80000000, v18
	v_lshl_add_u32 v18, v19, 23, v18
	v_lshl_or_b32 v2, v2, 21, v18
	v_add_u32_e32 v18, 0x38000000, v2
                                        ; implicit-def: $vgpr2
.LBB4_608:                              ;   in Loop: Header=BB4_444 Depth=2
	s_andn2_saveexec_b64 s[74:75], s[74:75]
; %bb.609:                              ;   in Loop: Header=BB4_444 Depth=2
	v_cmp_gt_i16_sdwa vcc, sext(v20), v27 src0_sel:BYTE_0 src1_sel:DWORD
	v_cndmask_b32_e32 v18, v5, v8, vcc
	v_cmp_eq_u32_e32 vcc, 0, v2
	v_cndmask_b32_e32 v18, v9, v18, vcc
; %bb.610:                              ;   in Loop: Header=BB4_444 Depth=2
	s_or_b64 exec, exec, s[74:75]
.LBB4_611:                              ;   in Loop: Header=BB4_444 Depth=2
	s_or_b64 exec, exec, s[72:73]
.LBB4_612:                              ;   in Loop: Header=BB4_444 Depth=2
	s_or_b64 exec, exec, s[16:17]
	v_alignbit_b32 v2, v34, v35, v33
	v_cmp_ne_u16_sdwa s[72:73], v2, v3 src0_sel:BYTE_0 src1_sel:DWORD
	s_and_saveexec_b64 s[16:17], s[72:73]
	s_cbranch_execz .LBB4_620
; %bb.613:                              ;   in Loop: Header=BB4_444 Depth=2
	v_cmp_ne_u16_sdwa s[74:75], sext(v2), s38 src0_sel:BYTE_0 src1_sel:DWORD
	v_bfrev_b32_e32 v0, 1
	s_and_saveexec_b64 s[72:73], s[74:75]
	s_cbranch_execz .LBB4_619
; %bb.614:                              ;   in Loop: Header=BB4_444 Depth=2
	v_and_b32_e32 v0, 0x7c, v2
	v_and_b32_e32 v19, 3, v2
	v_cmp_ne_u32_e32 vcc, s39, v0
                                        ; implicit-def: $vgpr0
	s_and_saveexec_b64 s[74:75], vcc
	s_xor_b64 s[74:75], exec, s[74:75]
	s_cbranch_execz .LBB4_616
; %bb.615:                              ;   in Loop: Header=BB4_444 Depth=2
	v_ffbh_u32_e32 v21, v19
	v_min_u32_e32 v21, 32, v21
	v_bfe_u32 v0, v2, 2, 5
	v_subrev_u32_e32 v24, 29, v21
	v_lshlrev_b64 v[24:25], v24, v[2:3]
	v_sub_u32_e32 v21, 30, v21
	v_cmp_eq_u32_e32 vcc, 0, v0
	v_cndmask_b32_e32 v0, v0, v21, vcc
	v_lshlrev_b32_e32 v21, 24, v2
	v_and_b32_e32 v24, 3, v24
	v_and_b32_e32 v21, 0x80000000, v21
	v_cndmask_b32_e32 v19, v19, v24, vcc
	v_lshl_add_u32 v0, v0, 23, v21
	v_lshl_or_b32 v0, v19, 21, v0
	v_add_u32_e32 v0, 0x38000000, v0
                                        ; implicit-def: $vgpr19
.LBB4_616:                              ;   in Loop: Header=BB4_444 Depth=2
	s_andn2_saveexec_b64 s[74:75], s[74:75]
; %bb.617:                              ;   in Loop: Header=BB4_444 Depth=2
	v_cmp_gt_i16_sdwa vcc, sext(v2), v27 src0_sel:BYTE_0 src1_sel:DWORD
	v_cndmask_b32_e32 v0, v5, v8, vcc
	v_cmp_eq_u32_e32 vcc, 0, v19
	v_cndmask_b32_e32 v0, v9, v0, vcc
; %bb.618:                              ;   in Loop: Header=BB4_444 Depth=2
	s_or_b64 exec, exec, s[74:75]
.LBB4_619:                              ;   in Loop: Header=BB4_444 Depth=2
	s_or_b64 exec, exec, s[72:73]
.LBB4_620:                              ;   in Loop: Header=BB4_444 Depth=2
	s_or_b64 exec, exec, s[16:17]
	v_mul_f32_e32 v24, v18, v0
	v_and_b32_e32 v30, 0x7f800000, v24
	v_mov_b32_e32 v31, v3
	v_cmp_ne_u64_e32 vcc, s[56:57], v[30:31]
	v_and_b32_e32 v18, 0x7fffff, v24
	v_mov_b32_e32 v19, v3
                                        ; implicit-def: $vgpr21
	s_and_saveexec_b64 s[16:17], vcc
	s_xor_b64 s[72:73], exec, s[16:17]
	s_cbranch_execz .LBB4_634
; %bb.621:                              ;   in Loop: Header=BB4_444 Depth=2
	v_and_b32_e32 v30, 0x7fffffff, v24
	v_mov_b32_e32 v31, v3
	v_cmp_gt_u64_e32 vcc, s[58:59], v[30:31]
	v_and_b32_sdwa v0, v24, s48 dst_sel:DWORD dst_unused:UNUSED_PAD src0_sel:BYTE_3 src1_sel:DWORD
                                        ; implicit-def: $vgpr21
	s_and_saveexec_b64 s[16:17], vcc
	s_xor_b64 s[74:75], exec, s[16:17]
	s_cbranch_execz .LBB4_631
; %bb.622:                              ;   in Loop: Header=BB4_444 Depth=2
	v_mov_b32_e32 v21, 0
	v_cmp_ne_u32_e32 vcc, 0, v24
	s_and_saveexec_b64 s[76:77], vcc
	s_cbranch_execz .LBB4_630
; %bb.623:                              ;   in Loop: Header=BB4_444 Depth=2
	v_bfe_u32 v21, v24, 23, 8
	v_cmp_gt_u32_e64 s[16:17], s49, v21
	v_sub_u32_e32 v24, 0x71, v21
	v_cmp_eq_u32_e32 vcc, 0, v21
	v_cndmask_b32_e64 v24, 0, v24, s[16:17]
	v_or_b32_e32 v25, 0x800000, v18
	v_cndmask_b32_e32 v24, v24, v40, vcc
	v_cndmask_b32_e32 v18, v25, v18, vcc
	v_add_u32_e32 v25, 21, v24
	v_lshlrev_b64 v[30:31], v25, -1
	v_add_u32_e32 v25, 20, v24
	v_bfi_b32 v30, v30, 0, v18
	v_lshlrev_b64 v[33:34], v25, 1
	v_lshrrev_b64 v[18:19], v24, v[18:19]
	v_bfi_b32 v31, v31, 0, 0
	v_cmp_eq_u64_e64 s[16:17], v[30:31], v[33:34]
	v_mov_b32_e32 v31, v19
	v_mov_b32_e32 v30, v18
	s_and_saveexec_b64 s[78:79], s[16:17]
; %bb.624:                              ;   in Loop: Header=BB4_444 Depth=2
	v_bfe_u32 v19, v18, 21, 1
	v_add_co_u32_e64 v19, s[16:17], v18, v19
	v_add_co_u32_e64 v30, s[16:17], -1, v19
; %bb.625:                              ;   in Loop: Header=BB4_444 Depth=2
	s_or_b64 exec, exec, s[78:79]
	v_add_u32_e32 v19, 0xffffff81, v21
	v_cndmask_b32_e32 v19, v19, v41, vcc
	v_lshrrev_b32_e32 v21, 23, v18
	v_add3_u32 v25, v24, v19, v21
	v_add_u32_e32 v24, 14, v25
	v_and_b32_e32 v19, 0x1fffff, v30
	v_add_u32_e32 v18, v19, v18
	v_mov_b32_e32 v19, v3
	v_cmp_ne_u32_e32 vcc, 0, v24
                                        ; implicit-def: $vgpr21
	s_and_saveexec_b64 s[16:17], vcc
	s_xor_b64 s[16:17], exec, s[16:17]
; %bb.626:                              ;   in Loop: Header=BB4_444 Depth=2
	v_cmp_lt_u64_e32 vcc, s[60:61], v[18:19]
	v_add_u32_e32 v21, 15, v25
	v_cndmask_b32_e32 v21, v24, v21, vcc
	v_cndmask_b32_e64 v24, 0, 1, vcc
	v_lshrrev_b64 v[18:19], v24, v[18:19]
; %bb.627:                              ;   in Loop: Header=BB4_444 Depth=2
	s_andn2_saveexec_b64 s[16:17], s[16:17]
; %bb.628:                              ;   in Loop: Header=BB4_444 Depth=2
	v_bfe_u32 v21, v18, 23, 1
; %bb.629:                              ;   in Loop: Header=BB4_444 Depth=2
	s_or_b64 exec, exec, s[16:17]
	v_lshrrev_b64 v[18:19], 21, v[18:19]
	v_cmp_gt_i32_e32 vcc, 32, v21
	v_cndmask_b32_e32 v19, 0, v19, vcc
	v_cndmask_b32_e32 v18, 3, v18, vcc
	v_cmp_eq_u64_e64 s[16:17], 0, v[18:19]
	v_min_i32_e32 v19, 31, v21
	v_lshlrev_b32_e32 v19, 2, v19
	v_cmp_eq_u32_e32 vcc, 0, v21
	v_and_b32_e32 v19, 0xfc, v19
	v_and_or_b32 v18, v18, 3, v19
	s_and_b64 s[16:17], vcc, s[16:17]
	v_cndmask_b32_e64 v18, v18, 0, s[16:17]
	v_or_b32_e32 v21, v18, v0
.LBB4_630:                              ;   in Loop: Header=BB4_444 Depth=2
	s_or_b64 exec, exec, s[76:77]
                                        ; implicit-def: $vgpr0
.LBB4_631:                              ;   in Loop: Header=BB4_444 Depth=2
	s_andn2_saveexec_b64 s[16:17], s[74:75]
; %bb.632:                              ;   in Loop: Header=BB4_444 Depth=2
	v_or_b32_e32 v21, 0x7b, v0
; %bb.633:                              ;   in Loop: Header=BB4_444 Depth=2
	s_or_b64 exec, exec, s[16:17]
                                        ; implicit-def: $vgpr24
                                        ; implicit-def: $vgpr18_vgpr19
.LBB4_634:                              ;   in Loop: Header=BB4_444 Depth=2
	s_andn2_saveexec_b64 s[16:17], s[72:73]
	s_cbranch_execz .LBB4_640
; %bb.635:                              ;   in Loop: Header=BB4_444 Depth=2
	v_cmp_ne_u64_e32 vcc, 0, v[18:19]
                                        ; implicit-def: $vgpr21
	s_and_saveexec_b64 s[72:73], vcc
	s_xor_b64 s[72:73], exec, s[72:73]
; %bb.636:                              ;   in Loop: Header=BB4_444 Depth=2
	v_or_b32_sdwa v21, v24, s50 dst_sel:DWORD dst_unused:UNUSED_PAD src0_sel:BYTE_3 src1_sel:DWORD
                                        ; implicit-def: $vgpr24
; %bb.637:                              ;   in Loop: Header=BB4_444 Depth=2
	s_andn2_saveexec_b64 s[72:73], s[72:73]
; %bb.638:                              ;   in Loop: Header=BB4_444 Depth=2
	v_cmp_lt_i32_e32 vcc, -1, v24
	v_cndmask_b32_e32 v21, v12, v50, vcc
; %bb.639:                              ;   in Loop: Header=BB4_444 Depth=2
	s_or_b64 exec, exec, s[72:73]
.LBB4_640:                              ;   in Loop: Header=BB4_444 Depth=2
	s_or_b64 exec, exec, s[16:17]
	v_lshrrev_b16_e32 v18, 8, v20
	v_cmp_ne_u16_e32 vcc, 0, v18
	v_mov_b32_e32 v0, 0
	v_mov_b32_e32 v24, 0
	s_and_saveexec_b64 s[16:17], vcc
	s_cbranch_execz .LBB4_648
; %bb.641:                              ;   in Loop: Header=BB4_444 Depth=2
	v_cmp_ne_u16_e32 vcc, s48, v18
	v_bfrev_b32_e32 v24, 1
	s_and_saveexec_b64 s[72:73], vcc
	s_cbranch_execz .LBB4_647
; %bb.642:                              ;   in Loop: Header=BB4_444 Depth=2
	v_and_b32_e32 v19, 0x7c, v18
	v_and_b32_e32 v25, 3, v18
	v_cmp_ne_u32_e32 vcc, s39, v19
                                        ; implicit-def: $vgpr24
	s_and_saveexec_b64 s[74:75], vcc
	s_xor_b64 s[74:75], exec, s[74:75]
	s_cbranch_execz .LBB4_644
; %bb.643:                              ;   in Loop: Header=BB4_444 Depth=2
	v_ffbh_u32_e32 v30, v25
	v_min_u32_e32 v30, 32, v30
	v_mov_b32_e32 v19, v3
	v_subrev_u32_e32 v31, 29, v30
	v_bfe_u32 v24, v18, 2, 5
	v_lshlrev_b64 v[18:19], v31, v[18:19]
	v_sub_u32_e32 v19, 30, v30
	v_cmp_eq_u32_e32 vcc, 0, v24
	v_cndmask_b32_e32 v19, v24, v19, vcc
	v_lshlrev_b32_e32 v24, 16, v20
	v_and_b32_e32 v18, 3, v18
	v_and_b32_e32 v24, 0x80000000, v24
	v_cndmask_b32_e32 v18, v25, v18, vcc
	v_lshl_add_u32 v19, v19, 23, v24
	v_lshl_or_b32 v18, v18, 21, v19
	v_add_u32_e32 v24, 0x38000000, v18
                                        ; implicit-def: $vgpr25
.LBB4_644:                              ;   in Loop: Header=BB4_444 Depth=2
	s_andn2_saveexec_b64 s[74:75], s[74:75]
; %bb.645:                              ;   in Loop: Header=BB4_444 Depth=2
	v_cmp_lt_i16_e32 vcc, -1, v20
	v_cndmask_b32_e32 v18, v5, v8, vcc
	v_cmp_eq_u32_e32 vcc, 0, v25
	v_cndmask_b32_e32 v24, v9, v18, vcc
; %bb.646:                              ;   in Loop: Header=BB4_444 Depth=2
	s_or_b64 exec, exec, s[74:75]
.LBB4_647:                              ;   in Loop: Header=BB4_444 Depth=2
	s_or_b64 exec, exec, s[72:73]
.LBB4_648:                              ;   in Loop: Header=BB4_444 Depth=2
	s_or_b64 exec, exec, s[16:17]
	v_lshrrev_b16_e32 v18, 8, v2
	v_cmp_ne_u16_e32 vcc, 0, v18
	s_and_saveexec_b64 s[16:17], vcc
	s_cbranch_execz .LBB4_656
; %bb.649:                              ;   in Loop: Header=BB4_444 Depth=2
	v_cmp_ne_u16_e32 vcc, s48, v18
	v_bfrev_b32_e32 v0, 1
	s_and_saveexec_b64 s[72:73], vcc
	s_cbranch_execz .LBB4_655
; %bb.650:                              ;   in Loop: Header=BB4_444 Depth=2
	v_and_b32_e32 v0, 0x7c, v18
	v_and_b32_e32 v25, 3, v18
	v_cmp_ne_u32_e32 vcc, s39, v0
                                        ; implicit-def: $vgpr0
	s_and_saveexec_b64 s[74:75], vcc
	s_xor_b64 s[74:75], exec, s[74:75]
	s_cbranch_execz .LBB4_652
; %bb.651:                              ;   in Loop: Header=BB4_444 Depth=2
	v_ffbh_u32_e32 v30, v25
	v_min_u32_e32 v30, 32, v30
	v_mov_b32_e32 v19, v3
	v_subrev_u32_e32 v31, 29, v30
	v_bfe_u32 v0, v18, 2, 5
	v_lshlrev_b64 v[18:19], v31, v[18:19]
	v_sub_u32_e32 v19, 30, v30
	v_cmp_eq_u32_e32 vcc, 0, v0
	v_cndmask_b32_e32 v0, v0, v19, vcc
	v_lshlrev_b32_e32 v19, 16, v2
	v_and_b32_e32 v18, 3, v18
	v_and_b32_e32 v19, 0x80000000, v19
	v_cndmask_b32_e32 v18, v25, v18, vcc
	v_lshl_add_u32 v0, v0, 23, v19
	v_lshl_or_b32 v0, v18, 21, v0
	v_add_u32_e32 v0, 0x38000000, v0
                                        ; implicit-def: $vgpr25
.LBB4_652:                              ;   in Loop: Header=BB4_444 Depth=2
	s_andn2_saveexec_b64 s[74:75], s[74:75]
; %bb.653:                              ;   in Loop: Header=BB4_444 Depth=2
	v_cmp_lt_i16_e32 vcc, -1, v2
	v_cndmask_b32_e32 v0, v5, v8, vcc
	v_cmp_eq_u32_e32 vcc, 0, v25
	v_cndmask_b32_e32 v0, v9, v0, vcc
; %bb.654:                              ;   in Loop: Header=BB4_444 Depth=2
	s_or_b64 exec, exec, s[74:75]
.LBB4_655:                              ;   in Loop: Header=BB4_444 Depth=2
	s_or_b64 exec, exec, s[72:73]
.LBB4_656:                              ;   in Loop: Header=BB4_444 Depth=2
	s_or_b64 exec, exec, s[16:17]
	v_mul_f32_e32 v25, v24, v0
	v_and_b32_e32 v30, 0x7f800000, v25
	v_mov_b32_e32 v31, v3
	v_cmp_ne_u64_e32 vcc, s[56:57], v[30:31]
	v_and_b32_e32 v18, 0x7fffff, v25
	v_mov_b32_e32 v19, v3
                                        ; implicit-def: $vgpr24
	s_and_saveexec_b64 s[16:17], vcc
	s_xor_b64 s[72:73], exec, s[16:17]
	s_cbranch_execz .LBB4_670
; %bb.657:                              ;   in Loop: Header=BB4_444 Depth=2
	v_and_b32_e32 v30, 0x7fffffff, v25
	v_mov_b32_e32 v31, v3
	v_cmp_gt_u64_e32 vcc, s[58:59], v[30:31]
	v_and_b32_sdwa v0, v25, s48 dst_sel:DWORD dst_unused:UNUSED_PAD src0_sel:BYTE_3 src1_sel:DWORD
                                        ; implicit-def: $vgpr24
	s_and_saveexec_b64 s[16:17], vcc
	s_xor_b64 s[74:75], exec, s[16:17]
	s_cbranch_execz .LBB4_667
; %bb.658:                              ;   in Loop: Header=BB4_444 Depth=2
	v_mov_b32_e32 v24, 0
	v_cmp_ne_u32_e32 vcc, 0, v25
	s_and_saveexec_b64 s[76:77], vcc
	s_cbranch_execz .LBB4_666
; %bb.659:                              ;   in Loop: Header=BB4_444 Depth=2
	v_bfe_u32 v24, v25, 23, 8
	v_cmp_gt_u32_e64 s[16:17], s49, v24
	v_sub_u32_e32 v25, 0x71, v24
	v_cmp_eq_u32_e32 vcc, 0, v24
	v_cndmask_b32_e64 v25, 0, v25, s[16:17]
	v_or_b32_e32 v30, 0x800000, v18
	v_cndmask_b32_e32 v25, v25, v40, vcc
	v_cndmask_b32_e32 v18, v30, v18, vcc
	v_add_u32_e32 v30, 21, v25
	v_lshlrev_b64 v[30:31], v30, -1
	v_add_u32_e32 v33, 20, v25
	v_bfi_b32 v30, v30, 0, v18
	v_lshlrev_b64 v[33:34], v33, 1
	v_lshrrev_b64 v[18:19], v25, v[18:19]
	v_bfi_b32 v31, v31, 0, 0
	v_cmp_eq_u64_e64 s[16:17], v[30:31], v[33:34]
	v_mov_b32_e32 v31, v19
	v_mov_b32_e32 v30, v18
	s_and_saveexec_b64 s[78:79], s[16:17]
; %bb.660:                              ;   in Loop: Header=BB4_444 Depth=2
	v_bfe_u32 v19, v18, 21, 1
	v_add_co_u32_e64 v19, s[16:17], v18, v19
	v_add_co_u32_e64 v30, s[16:17], -1, v19
; %bb.661:                              ;   in Loop: Header=BB4_444 Depth=2
	s_or_b64 exec, exec, s[78:79]
	v_add_u32_e32 v19, 0xffffff81, v24
	v_cndmask_b32_e32 v19, v19, v41, vcc
	v_lshrrev_b32_e32 v24, 23, v18
	v_add3_u32 v31, v25, v19, v24
	v_add_u32_e32 v25, 14, v31
	v_and_b32_e32 v19, 0x1fffff, v30
	v_add_u32_e32 v18, v19, v18
	v_mov_b32_e32 v19, v3
	v_cmp_ne_u32_e32 vcc, 0, v25
                                        ; implicit-def: $vgpr24
	s_and_saveexec_b64 s[16:17], vcc
	s_xor_b64 s[16:17], exec, s[16:17]
; %bb.662:                              ;   in Loop: Header=BB4_444 Depth=2
	v_cmp_lt_u64_e32 vcc, s[60:61], v[18:19]
	v_add_u32_e32 v24, 15, v31
	v_cndmask_b32_e32 v24, v25, v24, vcc
	v_cndmask_b32_e64 v25, 0, 1, vcc
	v_lshrrev_b64 v[18:19], v25, v[18:19]
; %bb.663:                              ;   in Loop: Header=BB4_444 Depth=2
	s_andn2_saveexec_b64 s[16:17], s[16:17]
; %bb.664:                              ;   in Loop: Header=BB4_444 Depth=2
	v_bfe_u32 v24, v18, 23, 1
; %bb.665:                              ;   in Loop: Header=BB4_444 Depth=2
	s_or_b64 exec, exec, s[16:17]
	v_lshrrev_b64 v[18:19], 21, v[18:19]
	v_cmp_gt_i32_e32 vcc, 32, v24
	v_cndmask_b32_e32 v19, 0, v19, vcc
	v_cndmask_b32_e32 v18, 3, v18, vcc
	v_cmp_eq_u64_e64 s[16:17], 0, v[18:19]
	v_min_i32_e32 v19, 31, v24
	v_lshlrev_b32_e32 v19, 2, v19
	v_cmp_eq_u32_e32 vcc, 0, v24
	v_and_b32_e32 v19, 0xfc, v19
	v_and_or_b32 v18, v18, 3, v19
	s_and_b64 s[16:17], vcc, s[16:17]
	v_cndmask_b32_e64 v18, v18, 0, s[16:17]
	v_or_b32_e32 v24, v18, v0
.LBB4_666:                              ;   in Loop: Header=BB4_444 Depth=2
	s_or_b64 exec, exec, s[76:77]
                                        ; implicit-def: $vgpr0
.LBB4_667:                              ;   in Loop: Header=BB4_444 Depth=2
	s_andn2_saveexec_b64 s[16:17], s[74:75]
; %bb.668:                              ;   in Loop: Header=BB4_444 Depth=2
	v_or_b32_e32 v24, 0x7b, v0
; %bb.669:                              ;   in Loop: Header=BB4_444 Depth=2
	s_or_b64 exec, exec, s[16:17]
                                        ; implicit-def: $vgpr25
                                        ; implicit-def: $vgpr18_vgpr19
.LBB4_670:                              ;   in Loop: Header=BB4_444 Depth=2
	s_andn2_saveexec_b64 s[16:17], s[72:73]
	s_cbranch_execz .LBB4_676
; %bb.671:                              ;   in Loop: Header=BB4_444 Depth=2
	v_cmp_ne_u64_e32 vcc, 0, v[18:19]
                                        ; implicit-def: $vgpr24
	s_and_saveexec_b64 s[72:73], vcc
	s_xor_b64 s[72:73], exec, s[72:73]
; %bb.672:                              ;   in Loop: Header=BB4_444 Depth=2
	v_or_b32_sdwa v24, v25, s50 dst_sel:DWORD dst_unused:UNUSED_PAD src0_sel:BYTE_3 src1_sel:DWORD
                                        ; implicit-def: $vgpr25
; %bb.673:                              ;   in Loop: Header=BB4_444 Depth=2
	s_andn2_saveexec_b64 s[72:73], s[72:73]
; %bb.674:                              ;   in Loop: Header=BB4_444 Depth=2
	v_cmp_lt_i32_e32 vcc, -1, v25
	v_cndmask_b32_e32 v24, v12, v50, vcc
; %bb.675:                              ;   in Loop: Header=BB4_444 Depth=2
	s_or_b64 exec, exec, s[72:73]
.LBB4_676:                              ;   in Loop: Header=BB4_444 Depth=2
	s_or_b64 exec, exec, s[16:17]
	v_lshrrev_b32_e32 v0, 16, v20
	v_cmp_ne_u16_sdwa s[72:73], v0, v3 src0_sel:BYTE_0 src1_sel:DWORD
	v_mov_b32_e32 v18, 0
	v_mov_b32_e32 v19, 0
	s_and_saveexec_b64 s[16:17], s[72:73]
	s_cbranch_execz .LBB4_684
; %bb.677:                              ;   in Loop: Header=BB4_444 Depth=2
	v_cmp_ne_u16_sdwa s[74:75], v0, s48 src0_sel:BYTE_0 src1_sel:DWORD
	v_bfrev_b32_e32 v19, 1
	s_and_saveexec_b64 s[72:73], s[74:75]
	s_cbranch_execz .LBB4_683
; %bb.678:                              ;   in Loop: Header=BB4_444 Depth=2
	v_and_b32_e32 v19, 0x7c0000, v20
	v_bfe_u32 v25, v20, 16, 2
	v_cmp_ne_u32_e32 vcc, s51, v19
                                        ; implicit-def: $vgpr19
	s_and_saveexec_b64 s[74:75], vcc
	s_xor_b64 s[74:75], exec, s[74:75]
	s_cbranch_execz .LBB4_680
; %bb.679:                              ;   in Loop: Header=BB4_444 Depth=2
	v_ffbh_u32_e32 v30, v25
	v_min_u32_e32 v33, 32, v30
	v_subrev_u32_e32 v30, 29, v33
	v_lshlrev_b64 v[30:31], v30, v[0:1]
	v_bfe_u32 v19, v20, 18, 5
	v_sub_u32_e32 v0, 30, v33
	v_and_b32_e32 v30, 3, v30
	v_cmp_eq_u32_e32 vcc, 0, v19
	v_cndmask_b32_e32 v0, v19, v0, vcc
	v_cndmask_b32_e32 v19, v25, v30, vcc
	v_lshlrev_b32_e32 v25, 8, v20
	v_and_b32_e32 v25, 0x80000000, v25
	v_lshl_add_u32 v0, v0, 23, v25
	v_lshl_or_b32 v0, v19, 21, v0
	v_add_u32_e32 v19, 0x38000000, v0
                                        ; implicit-def: $vgpr25
                                        ; implicit-def: $vgpr0
.LBB4_680:                              ;   in Loop: Header=BB4_444 Depth=2
	s_andn2_saveexec_b64 s[74:75], s[74:75]
; %bb.681:                              ;   in Loop: Header=BB4_444 Depth=2
	v_cmp_gt_i16_sdwa vcc, sext(v0), v27 src0_sel:BYTE_0 src1_sel:DWORD
	v_cndmask_b32_e32 v0, v5, v8, vcc
	v_cmp_eq_u32_e32 vcc, 0, v25
	v_cndmask_b32_e32 v19, v9, v0, vcc
; %bb.682:                              ;   in Loop: Header=BB4_444 Depth=2
	s_or_b64 exec, exec, s[74:75]
.LBB4_683:                              ;   in Loop: Header=BB4_444 Depth=2
	s_or_b64 exec, exec, s[72:73]
.LBB4_684:                              ;   in Loop: Header=BB4_444 Depth=2
	s_or_b64 exec, exec, s[16:17]
	v_and_b32_sdwa v25, v2, s37 dst_sel:DWORD dst_unused:UNUSED_PAD src0_sel:WORD_1 src1_sel:DWORD
	v_lshrrev_b32_e32 v0, 16, v2
	v_cmp_ne_u16_e32 vcc, 0, v25
	s_and_saveexec_b64 s[16:17], vcc
	s_cbranch_execz .LBB4_692
; %bb.685:                              ;   in Loop: Header=BB4_444 Depth=2
	v_cmp_ne_u16_e32 vcc, s48, v25
	v_bfrev_b32_e32 v18, 1
	s_and_saveexec_b64 s[72:73], vcc
	s_cbranch_execz .LBB4_691
; %bb.686:                              ;   in Loop: Header=BB4_444 Depth=2
	v_and_b32_e32 v18, 0x7c0000, v2
	v_bfe_u32 v25, v2, 16, 2
	v_cmp_ne_u32_e32 vcc, s51, v18
                                        ; implicit-def: $vgpr18
	s_and_saveexec_b64 s[74:75], vcc
	s_xor_b64 s[74:75], exec, s[74:75]
	s_cbranch_execz .LBB4_688
; %bb.687:                              ;   in Loop: Header=BB4_444 Depth=2
	v_ffbh_u32_e32 v30, v25
	v_min_u32_e32 v33, 32, v30
	v_subrev_u32_e32 v30, 29, v33
	v_lshlrev_b64 v[30:31], v30, v[0:1]
	v_bfe_u32 v18, v2, 18, 5
	v_sub_u32_e32 v0, 30, v33
	v_and_b32_e32 v30, 3, v30
	v_cmp_eq_u32_e32 vcc, 0, v18
	v_cndmask_b32_e32 v0, v18, v0, vcc
	v_cndmask_b32_e32 v18, v25, v30, vcc
	v_lshlrev_b32_e32 v25, 8, v2
	v_and_b32_e32 v25, 0x80000000, v25
	v_lshl_add_u32 v0, v0, 23, v25
	v_lshl_or_b32 v0, v18, 21, v0
	v_add_u32_e32 v18, 0x38000000, v0
                                        ; implicit-def: $vgpr25
                                        ; implicit-def: $vgpr0
.LBB4_688:                              ;   in Loop: Header=BB4_444 Depth=2
	s_andn2_saveexec_b64 s[74:75], s[74:75]
; %bb.689:                              ;   in Loop: Header=BB4_444 Depth=2
	v_cmp_gt_i16_sdwa vcc, sext(v0), v27 src0_sel:BYTE_0 src1_sel:DWORD
	v_cndmask_b32_e32 v0, v5, v8, vcc
	v_cmp_eq_u32_e32 vcc, 0, v25
	v_cndmask_b32_e32 v18, v9, v0, vcc
; %bb.690:                              ;   in Loop: Header=BB4_444 Depth=2
	s_or_b64 exec, exec, s[74:75]
.LBB4_691:                              ;   in Loop: Header=BB4_444 Depth=2
	s_or_b64 exec, exec, s[72:73]
.LBB4_692:                              ;   in Loop: Header=BB4_444 Depth=2
	s_or_b64 exec, exec, s[16:17]
	v_mul_f32_e32 v30, v19, v18
	v_and_b32_e32 v33, 0x7f800000, v30
	v_mov_b32_e32 v34, v3
	v_cmp_ne_u64_e32 vcc, s[56:57], v[33:34]
	v_and_b32_e32 v18, 0x7fffff, v30
	v_mov_b32_e32 v19, v3
                                        ; implicit-def: $vgpr25
	s_and_saveexec_b64 s[16:17], vcc
	s_xor_b64 s[72:73], exec, s[16:17]
	s_cbranch_execz .LBB4_706
; %bb.693:                              ;   in Loop: Header=BB4_444 Depth=2
	v_and_b32_e32 v33, 0x7fffffff, v30
	v_mov_b32_e32 v34, v3
	v_cmp_gt_u64_e32 vcc, s[58:59], v[33:34]
	v_and_b32_sdwa v0, v30, s48 dst_sel:DWORD dst_unused:UNUSED_PAD src0_sel:BYTE_3 src1_sel:DWORD
                                        ; implicit-def: $vgpr25
	s_and_saveexec_b64 s[16:17], vcc
	s_xor_b64 s[74:75], exec, s[16:17]
	s_cbranch_execz .LBB4_703
; %bb.694:                              ;   in Loop: Header=BB4_444 Depth=2
	v_mov_b32_e32 v25, 0
	v_cmp_ne_u32_e32 vcc, 0, v30
	s_and_saveexec_b64 s[76:77], vcc
	s_cbranch_execz .LBB4_702
; %bb.695:                              ;   in Loop: Header=BB4_444 Depth=2
	v_bfe_u32 v25, v30, 23, 8
	v_cmp_gt_u32_e64 s[16:17], s49, v25
	v_sub_u32_e32 v30, 0x71, v25
	v_cmp_eq_u32_e32 vcc, 0, v25
	v_cndmask_b32_e64 v30, 0, v30, s[16:17]
	v_cndmask_b32_e32 v33, v30, v40, vcc
	v_or_b32_e32 v31, 0x800000, v18
	v_add_u32_e32 v30, 21, v33
	v_cndmask_b32_e32 v18, v31, v18, vcc
	v_lshlrev_b64 v[30:31], v30, -1
	v_add_u32_e32 v34, 20, v33
	v_bfi_b32 v30, v30, 0, v18
	v_lshlrev_b64 v[34:35], v34, 1
	v_lshrrev_b64 v[18:19], v33, v[18:19]
	v_bfi_b32 v31, v31, 0, 0
	v_cmp_eq_u64_e64 s[16:17], v[30:31], v[34:35]
	v_mov_b32_e32 v31, v19
	v_mov_b32_e32 v30, v18
	s_and_saveexec_b64 s[78:79], s[16:17]
; %bb.696:                              ;   in Loop: Header=BB4_444 Depth=2
	v_bfe_u32 v19, v18, 21, 1
	v_add_co_u32_e64 v19, s[16:17], v18, v19
	v_add_co_u32_e64 v30, s[16:17], -1, v19
; %bb.697:                              ;   in Loop: Header=BB4_444 Depth=2
	s_or_b64 exec, exec, s[78:79]
	v_add_u32_e32 v19, 0xffffff81, v25
	v_cndmask_b32_e32 v19, v19, v41, vcc
	v_lshrrev_b32_e32 v25, 23, v18
	v_add3_u32 v33, v33, v19, v25
	v_add_u32_e32 v31, 14, v33
	v_and_b32_e32 v19, 0x1fffff, v30
	v_add_u32_e32 v18, v19, v18
	v_mov_b32_e32 v19, v3
	v_cmp_ne_u32_e32 vcc, 0, v31
                                        ; implicit-def: $vgpr25
	s_and_saveexec_b64 s[16:17], vcc
	s_xor_b64 s[16:17], exec, s[16:17]
; %bb.698:                              ;   in Loop: Header=BB4_444 Depth=2
	v_cmp_lt_u64_e32 vcc, s[60:61], v[18:19]
	v_add_u32_e32 v25, 15, v33
	v_cndmask_b32_e64 v30, 0, 1, vcc
	v_cndmask_b32_e32 v25, v31, v25, vcc
	v_lshrrev_b64 v[18:19], v30, v[18:19]
; %bb.699:                              ;   in Loop: Header=BB4_444 Depth=2
	s_andn2_saveexec_b64 s[16:17], s[16:17]
; %bb.700:                              ;   in Loop: Header=BB4_444 Depth=2
	v_bfe_u32 v25, v18, 23, 1
; %bb.701:                              ;   in Loop: Header=BB4_444 Depth=2
	s_or_b64 exec, exec, s[16:17]
	v_lshrrev_b64 v[18:19], 21, v[18:19]
	v_cmp_gt_i32_e32 vcc, 32, v25
	v_cndmask_b32_e32 v19, 0, v19, vcc
	v_cndmask_b32_e32 v18, 3, v18, vcc
	v_cmp_eq_u64_e64 s[16:17], 0, v[18:19]
	v_min_i32_e32 v19, 31, v25
	v_lshlrev_b32_e32 v19, 2, v19
	v_cmp_eq_u32_e32 vcc, 0, v25
	v_and_b32_e32 v19, 0xfc, v19
	v_and_or_b32 v18, v18, 3, v19
	s_and_b64 s[16:17], vcc, s[16:17]
	v_cndmask_b32_e64 v18, v18, 0, s[16:17]
	v_or_b32_e32 v25, v18, v0
.LBB4_702:                              ;   in Loop: Header=BB4_444 Depth=2
	s_or_b64 exec, exec, s[76:77]
                                        ; implicit-def: $vgpr0
.LBB4_703:                              ;   in Loop: Header=BB4_444 Depth=2
	s_andn2_saveexec_b64 s[16:17], s[74:75]
; %bb.704:                              ;   in Loop: Header=BB4_444 Depth=2
	v_or_b32_e32 v25, 0x7b, v0
; %bb.705:                              ;   in Loop: Header=BB4_444 Depth=2
	s_or_b64 exec, exec, s[16:17]
                                        ; implicit-def: $vgpr30
                                        ; implicit-def: $vgpr18_vgpr19
.LBB4_706:                              ;   in Loop: Header=BB4_444 Depth=2
	s_andn2_saveexec_b64 s[16:17], s[72:73]
	s_cbranch_execz .LBB4_712
; %bb.707:                              ;   in Loop: Header=BB4_444 Depth=2
	v_cmp_ne_u64_e32 vcc, 0, v[18:19]
                                        ; implicit-def: $vgpr25
	s_and_saveexec_b64 s[72:73], vcc
	s_xor_b64 s[72:73], exec, s[72:73]
; %bb.708:                              ;   in Loop: Header=BB4_444 Depth=2
	v_or_b32_sdwa v25, v30, s50 dst_sel:DWORD dst_unused:UNUSED_PAD src0_sel:BYTE_3 src1_sel:DWORD
                                        ; implicit-def: $vgpr30
; %bb.709:                              ;   in Loop: Header=BB4_444 Depth=2
	s_andn2_saveexec_b64 s[72:73], s[72:73]
; %bb.710:                              ;   in Loop: Header=BB4_444 Depth=2
	v_cmp_lt_i32_e32 vcc, -1, v30
	v_cndmask_b32_e32 v25, v12, v50, vcc
; %bb.711:                              ;   in Loop: Header=BB4_444 Depth=2
	s_or_b64 exec, exec, s[72:73]
.LBB4_712:                              ;   in Loop: Header=BB4_444 Depth=2
	s_or_b64 exec, exec, s[16:17]
	v_mov_b32_e32 v19, v3
	v_cmp_lt_u64_e32 vcc, s[46:47], v[19:20]
	v_mov_b32_e32 v18, 0
	v_mov_b32_e32 v30, 0
	s_and_saveexec_b64 s[16:17], vcc
	s_cbranch_execz .LBB4_720
; %bb.713:                              ;   in Loop: Header=BB4_444 Depth=2
	v_lshrrev_b32_e32 v0, 24, v20
	v_cmp_ne_u32_e32 vcc, s48, v0
	v_bfrev_b32_e32 v30, 1
	s_and_saveexec_b64 s[72:73], vcc
	s_cbranch_execz .LBB4_719
; %bb.714:                              ;   in Loop: Header=BB4_444 Depth=2
	v_and_b32_e32 v30, 0x7c000000, v20
	v_bfe_u32 v31, v20, 24, 2
	v_cmp_ne_u32_e32 vcc, s52, v30
                                        ; implicit-def: $vgpr30
	s_and_saveexec_b64 s[74:75], vcc
	s_xor_b64 s[74:75], exec, s[74:75]
	s_cbranch_execz .LBB4_716
; %bb.715:                              ;   in Loop: Header=BB4_444 Depth=2
	v_ffbh_u32_e32 v30, v31
	v_min_u32_e32 v30, 32, v30
	v_subrev_u32_e32 v33, 29, v30
	v_bfe_u32 v19, v20, 26, 5
	v_lshlrev_b64 v[33:34], v33, v[0:1]
	v_sub_u32_e32 v0, 30, v30
	v_cmp_eq_u32_e32 vcc, 0, v19
	v_and_b32_e32 v30, 3, v33
	v_cndmask_b32_e32 v0, v19, v0, vcc
	v_and_b32_e32 v20, 0x80000000, v20
	v_cndmask_b32_e32 v19, v31, v30, vcc
	v_lshl_add_u32 v0, v0, 23, v20
	v_lshl_or_b32 v0, v19, 21, v0
	v_add_u32_e32 v30, 0x38000000, v0
                                        ; implicit-def: $vgpr31
                                        ; implicit-def: $vgpr19_vgpr20
.LBB4_716:                              ;   in Loop: Header=BB4_444 Depth=2
	s_andn2_saveexec_b64 s[74:75], s[74:75]
; %bb.717:                              ;   in Loop: Header=BB4_444 Depth=2
	v_cmp_lt_i64_e32 vcc, -1, v[19:20]
	v_cndmask_b32_e32 v0, v5, v8, vcc
	v_cmp_eq_u32_e32 vcc, 0, v31
	v_cndmask_b32_e32 v30, v9, v0, vcc
; %bb.718:                              ;   in Loop: Header=BB4_444 Depth=2
	s_or_b64 exec, exec, s[74:75]
.LBB4_719:                              ;   in Loop: Header=BB4_444 Depth=2
	s_or_b64 exec, exec, s[72:73]
.LBB4_720:                              ;   in Loop: Header=BB4_444 Depth=2
	s_or_b64 exec, exec, s[16:17]
	v_cmp_lt_u32_e32 vcc, s47, v2
	s_and_saveexec_b64 s[16:17], vcc
	s_cbranch_execz .LBB4_728
; %bb.721:                              ;   in Loop: Header=BB4_444 Depth=2
	v_lshrrev_b32_e32 v0, 24, v2
	v_cmp_ne_u32_e32 vcc, s48, v0
	v_bfrev_b32_e32 v18, 1
	s_and_saveexec_b64 s[72:73], vcc
	s_cbranch_execz .LBB4_727
; %bb.722:                              ;   in Loop: Header=BB4_444 Depth=2
	v_and_b32_e32 v18, 0x7c000000, v2
	v_bfe_u32 v19, v2, 24, 2
	v_cmp_ne_u32_e32 vcc, s52, v18
                                        ; implicit-def: $vgpr18
	s_and_saveexec_b64 s[74:75], vcc
	s_xor_b64 s[74:75], exec, s[74:75]
	s_cbranch_execz .LBB4_724
; %bb.723:                              ;   in Loop: Header=BB4_444 Depth=2
	v_ffbh_u32_e32 v20, v19
	v_min_u32_e32 v20, 32, v20
	v_subrev_u32_e32 v31, 29, v20
	v_bfe_u32 v18, v2, 26, 5
	v_lshlrev_b64 v[33:34], v31, v[0:1]
	v_sub_u32_e32 v0, 30, v20
	v_cmp_eq_u32_e32 vcc, 0, v18
	v_and_b32_e32 v20, 3, v33
	v_cndmask_b32_e32 v0, v18, v0, vcc
	v_and_b32_e32 v2, 0x80000000, v2
	v_cndmask_b32_e32 v18, v19, v20, vcc
	v_lshl_add_u32 v0, v0, 23, v2
	v_lshl_or_b32 v0, v18, 21, v0
	v_add_u32_e32 v18, 0x38000000, v0
                                        ; implicit-def: $vgpr19
.LBB4_724:                              ;   in Loop: Header=BB4_444 Depth=2
	s_andn2_saveexec_b64 s[74:75], s[74:75]
; %bb.725:                              ;   in Loop: Header=BB4_444 Depth=2
	v_cmp_lt_i32_e32 vcc, -1, v2
	v_cndmask_b32_e32 v0, v5, v8, vcc
	v_cmp_eq_u32_e32 vcc, 0, v19
	v_cndmask_b32_e32 v18, v9, v0, vcc
; %bb.726:                              ;   in Loop: Header=BB4_444 Depth=2
	s_or_b64 exec, exec, s[74:75]
.LBB4_727:                              ;   in Loop: Header=BB4_444 Depth=2
	s_or_b64 exec, exec, s[72:73]
.LBB4_728:                              ;   in Loop: Header=BB4_444 Depth=2
	s_or_b64 exec, exec, s[16:17]
	v_mul_f32_e32 v18, v30, v18
	v_and_b32_e32 v19, 0x7f800000, v18
	v_mov_b32_e32 v20, v3
	v_cmp_ne_u64_e32 vcc, s[56:57], v[19:20]
	v_and_b32_e32 v2, 0x7fffff, v18
                                        ; implicit-def: $vgpr19
	s_and_saveexec_b64 s[16:17], vcc
	s_xor_b64 s[72:73], exec, s[16:17]
	s_cbranch_execz .LBB4_742
; %bb.729:                              ;   in Loop: Header=BB4_444 Depth=2
	v_and_b32_e32 v19, 0x7fffffff, v18
	v_mov_b32_e32 v20, v3
	v_cmp_gt_u64_e32 vcc, s[58:59], v[19:20]
	v_and_b32_sdwa v0, v18, s48 dst_sel:DWORD dst_unused:UNUSED_PAD src0_sel:BYTE_3 src1_sel:DWORD
                                        ; implicit-def: $vgpr19
	s_and_saveexec_b64 s[16:17], vcc
	s_xor_b64 s[74:75], exec, s[16:17]
	s_cbranch_execz .LBB4_739
; %bb.730:                              ;   in Loop: Header=BB4_444 Depth=2
	v_mov_b32_e32 v19, 0
	v_cmp_ne_u32_e32 vcc, 0, v18
	s_and_saveexec_b64 s[76:77], vcc
	s_cbranch_execz .LBB4_738
; %bb.731:                              ;   in Loop: Header=BB4_444 Depth=2
	v_bfe_u32 v30, v18, 23, 8
	v_cmp_gt_u32_e64 s[16:17], s49, v30
	v_sub_u32_e32 v18, 0x71, v30
	v_cmp_eq_u32_e32 vcc, 0, v30
	v_cndmask_b32_e64 v18, 0, v18, s[16:17]
	v_cndmask_b32_e32 v31, v18, v40, vcc
	v_or_b32_e32 v19, 0x800000, v2
	v_add_u32_e32 v18, 21, v31
	v_cndmask_b32_e32 v2, v19, v2, vcc
	v_lshlrev_b64 v[18:19], v18, -1
	v_add_u32_e32 v20, 20, v31
	v_lshlrev_b64 v[33:34], v20, 1
	v_bfi_b32 v19, v19, 0, 0
	v_bfi_b32 v18, v18, 0, v2
	v_cmp_eq_u64_e64 s[16:17], v[18:19], v[33:34]
	v_lshrrev_b64 v[18:19], v31, v[2:3]
	v_mov_b32_e32 v20, v19
	v_mov_b32_e32 v19, v18
	s_and_saveexec_b64 s[78:79], s[16:17]
; %bb.732:                              ;   in Loop: Header=BB4_444 Depth=2
	v_bfe_u32 v2, v18, 21, 1
	v_add_co_u32_e64 v2, s[16:17], v18, v2
	v_add_co_u32_e64 v19, s[16:17], -1, v2
; %bb.733:                              ;   in Loop: Header=BB4_444 Depth=2
	s_or_b64 exec, exec, s[78:79]
	v_add_u32_e32 v2, 0xffffff81, v30
	v_cndmask_b32_e32 v2, v2, v41, vcc
	v_lshrrev_b32_e32 v20, 23, v18
	v_add3_u32 v31, v31, v2, v20
	v_add_u32_e32 v30, 14, v31
	v_and_b32_e32 v2, 0x1fffff, v19
	v_add_u32_e32 v2, v2, v18
	v_cmp_ne_u32_e32 vcc, 0, v30
                                        ; implicit-def: $vgpr18_vgpr19
                                        ; implicit-def: $vgpr20
	s_and_saveexec_b64 s[16:17], vcc
	s_xor_b64 s[16:17], exec, s[16:17]
; %bb.734:                              ;   in Loop: Header=BB4_444 Depth=2
	v_cmp_lt_u64_e32 vcc, s[60:61], v[2:3]
	v_add_u32_e32 v18, 15, v31
	v_cndmask_b32_e32 v20, v30, v18, vcc
	v_cndmask_b32_e64 v18, 0, 1, vcc
	v_lshrrev_b64 v[18:19], v18, v[2:3]
; %bb.735:                              ;   in Loop: Header=BB4_444 Depth=2
	s_andn2_saveexec_b64 s[16:17], s[16:17]
; %bb.736:                              ;   in Loop: Header=BB4_444 Depth=2
	v_mov_b32_e32 v19, v3
	v_bfe_u32 v20, v2, 23, 1
	v_mov_b32_e32 v18, v2
; %bb.737:                              ;   in Loop: Header=BB4_444 Depth=2
	s_or_b64 exec, exec, s[16:17]
	v_lshrrev_b64 v[18:19], 21, v[18:19]
	v_cmp_gt_i32_e32 vcc, 32, v20
	v_cndmask_b32_e32 v19, 0, v19, vcc
	v_cndmask_b32_e32 v18, 3, v18, vcc
	v_min_i32_e32 v2, 31, v20
	v_cmp_eq_u64_e64 s[16:17], 0, v[18:19]
	v_lshlrev_b32_e32 v2, 2, v2
	v_cmp_eq_u32_e32 vcc, 0, v20
	v_and_b32_e32 v2, 0xfc, v2
	v_and_or_b32 v2, v18, 3, v2
	s_and_b64 s[16:17], vcc, s[16:17]
	v_cndmask_b32_e64 v2, v2, 0, s[16:17]
	v_or_b32_e32 v19, v2, v0
.LBB4_738:                              ;   in Loop: Header=BB4_444 Depth=2
	s_or_b64 exec, exec, s[76:77]
                                        ; implicit-def: $vgpr0
.LBB4_739:                              ;   in Loop: Header=BB4_444 Depth=2
	s_andn2_saveexec_b64 s[16:17], s[74:75]
; %bb.740:                              ;   in Loop: Header=BB4_444 Depth=2
	v_or_b32_e32 v19, 0x7b, v0
; %bb.741:                              ;   in Loop: Header=BB4_444 Depth=2
	s_or_b64 exec, exec, s[16:17]
                                        ; implicit-def: $vgpr18
.LBB4_742:                              ;   in Loop: Header=BB4_444 Depth=2
	s_andn2_saveexec_b64 s[16:17], s[72:73]
	s_cbranch_execz .LBB4_748
; %bb.743:                              ;   in Loop: Header=BB4_444 Depth=2
	v_cmp_ne_u64_e32 vcc, 0, v[2:3]
                                        ; implicit-def: $vgpr19
	s_and_saveexec_b64 s[72:73], vcc
	s_xor_b64 s[72:73], exec, s[72:73]
; %bb.744:                              ;   in Loop: Header=BB4_444 Depth=2
	v_or_b32_sdwa v19, v18, s50 dst_sel:DWORD dst_unused:UNUSED_PAD src0_sel:BYTE_3 src1_sel:DWORD
                                        ; implicit-def: $vgpr18
; %bb.745:                              ;   in Loop: Header=BB4_444 Depth=2
	s_andn2_saveexec_b64 s[72:73], s[72:73]
; %bb.746:                              ;   in Loop: Header=BB4_444 Depth=2
	v_cmp_lt_i32_e32 vcc, -1, v18
	v_cndmask_b32_e32 v19, v12, v50, vcc
; %bb.747:                              ;   in Loop: Header=BB4_444 Depth=2
	s_or_b64 exec, exec, s[72:73]
.LBB4_748:                              ;   in Loop: Header=BB4_444 Depth=2
	s_or_b64 exec, exec, s[16:17]
	v_lshlrev_b32_e32 v0, 16, v32
	v_lshlrev_b32_e32 v2, 24, v4
	v_lshl_or_b32 v0, v6, 8, v0
	v_or3_b32 v18, v0, v2, v26
	v_lshlrev_b32_e32 v2, 16, v25
	v_lshlrev_b32_e32 v0, 24, v19
	v_lshl_or_b32 v2, v24, 8, v2
	v_cmp_lt_u32_e32 vcc, 7, v7
	v_or3_b32 v19, v2, v0, v21
	s_cmp_lg_u64 vcc, exec
	s_mov_b64 s[16:17], -1
	s_cbranch_scc0 .LBB4_758
; %bb.749:                              ;   in Loop: Header=BB4_444 Depth=2
	v_cmp_ne_u32_e64 s[16:17], 1, v7
	flat_store_byte v[56:57], v26
	s_and_saveexec_b64 s[72:73], s[16:17]
	s_cbranch_execnz .LBB4_760
; %bb.750:                              ;   in Loop: Header=BB4_444 Depth=2
	s_or_b64 exec, exec, s[72:73]
	v_cmp_lt_u32_e64 s[16:17], 2, v7
	s_and_saveexec_b64 s[72:73], s[16:17]
	s_cbranch_execnz .LBB4_761
.LBB4_751:                              ;   in Loop: Header=BB4_444 Depth=2
	s_or_b64 exec, exec, s[72:73]
	v_cmp_lt_u32_e64 s[16:17], 3, v7
	s_and_saveexec_b64 s[72:73], s[16:17]
	s_cbranch_execnz .LBB4_762
.LBB4_752:                              ;   in Loop: Header=BB4_444 Depth=2
	s_or_b64 exec, exec, s[72:73]
	v_cmp_lt_u32_e64 s[16:17], 4, v7
	s_and_saveexec_b64 s[72:73], s[16:17]
	s_cbranch_execnz .LBB4_763
.LBB4_753:                              ;   in Loop: Header=BB4_444 Depth=2
	s_or_b64 exec, exec, s[72:73]
	v_cmp_lt_u32_e64 s[16:17], 5, v7
	s_and_saveexec_b64 s[72:73], s[16:17]
	s_cbranch_execnz .LBB4_764
.LBB4_754:                              ;   in Loop: Header=BB4_444 Depth=2
	s_or_b64 exec, exec, s[72:73]
	v_cmp_lt_u32_e64 s[16:17], 6, v7
	s_and_saveexec_b64 s[72:73], s[16:17]
	s_cbranch_execnz .LBB4_765
.LBB4_755:                              ;   in Loop: Header=BB4_444 Depth=2
	s_or_b64 exec, exec, s[72:73]
	s_and_saveexec_b64 s[16:17], vcc
	s_cbranch_execz .LBB4_757
.LBB4_756:                              ;   in Loop: Header=BB4_444 Depth=2
	v_lshrrev_b32_e32 v0, 24, v19
	flat_store_byte v[56:57], v0 offset:7
.LBB4_757:                              ;   in Loop: Header=BB4_444 Depth=2
	s_or_b64 exec, exec, s[16:17]
	s_mov_b64 s[16:17], 0
.LBB4_758:                              ;   in Loop: Header=BB4_444 Depth=2
	s_and_b64 vcc, exec, s[16:17]
	s_cbranch_vccz .LBB4_443
; %bb.759:                              ;   in Loop: Header=BB4_444 Depth=2
	global_store_dwordx2 v[56:57], v[18:19], off
	s_branch .LBB4_443
.LBB4_760:                              ;   in Loop: Header=BB4_444 Depth=2
	v_lshrrev_b32_e32 v0, 8, v18
	flat_store_byte v[56:57], v0 offset:1
	s_or_b64 exec, exec, s[72:73]
	v_cmp_lt_u32_e64 s[16:17], 2, v7
	s_and_saveexec_b64 s[72:73], s[16:17]
	s_cbranch_execz .LBB4_751
.LBB4_761:                              ;   in Loop: Header=BB4_444 Depth=2
	flat_store_byte_d16_hi v[56:57], v18 offset:2
	s_or_b64 exec, exec, s[72:73]
	v_cmp_lt_u32_e64 s[16:17], 3, v7
	s_and_saveexec_b64 s[72:73], s[16:17]
	s_cbranch_execz .LBB4_752
.LBB4_762:                              ;   in Loop: Header=BB4_444 Depth=2
	v_lshrrev_b32_e32 v0, 24, v18
	flat_store_byte v[56:57], v0 offset:3
	s_or_b64 exec, exec, s[72:73]
	v_cmp_lt_u32_e64 s[16:17], 4, v7
	s_and_saveexec_b64 s[72:73], s[16:17]
	s_cbranch_execz .LBB4_753
.LBB4_763:                              ;   in Loop: Header=BB4_444 Depth=2
	flat_store_byte v[56:57], v21 offset:4
	s_or_b64 exec, exec, s[72:73]
	v_cmp_lt_u32_e64 s[16:17], 5, v7
	s_and_saveexec_b64 s[72:73], s[16:17]
	s_cbranch_execz .LBB4_754
.LBB4_764:                              ;   in Loop: Header=BB4_444 Depth=2
	v_lshrrev_b32_e32 v0, 8, v19
	flat_store_byte v[56:57], v0 offset:5
	s_or_b64 exec, exec, s[72:73]
	v_cmp_lt_u32_e64 s[16:17], 6, v7
	s_and_saveexec_b64 s[72:73], s[16:17]
	s_cbranch_execz .LBB4_755
.LBB4_765:                              ;   in Loop: Header=BB4_444 Depth=2
	flat_store_byte_d16_hi v[56:57], v19 offset:6
	s_or_b64 exec, exec, s[72:73]
	s_and_saveexec_b64 s[16:17], vcc
	s_cbranch_execnz .LBB4_756
	s_branch .LBB4_757
.LBB4_766:                              ;   in Loop: Header=BB4_24 Depth=1
	s_or_b64 exec, exec, s[62:63]
.LBB4_767:                              ;   in Loop: Header=BB4_24 Depth=1
	s_or_b64 exec, exec, s[18:19]
	buffer_load_dword v18, off, s[0:3], s32 offset:148 ; 4-byte Folded Reload
	buffer_load_dword v19, off, s[0:3], s32 offset:152 ; 4-byte Folded Reload
	;; [unrolled: 1-line block ×8, first 2 shown]
	s_waitcnt vmcnt(0)
	v_mov_b32_e32 v10, v20
	v_mov_b32_e32 v11, v21
	s_and_saveexec_b64 s[16:17], s[10:11]
	s_cbranch_execz .LBB4_786
; %bb.768:                              ;   in Loop: Header=BB4_24 Depth=1
	s_and_saveexec_b64 s[18:19], s[40:41]
	s_xor_b64 s[18:19], exec, s[18:19]
	s_cbranch_execz .LBB4_783
; %bb.769:                              ;   in Loop: Header=BB4_24 Depth=1
	s_and_saveexec_b64 s[62:63], s[12:13]
	s_cbranch_execz .LBB4_782
; %bb.770:                              ;   in Loop: Header=BB4_24 Depth=1
	s_mov_b64 s[74:75], exec
	s_waitcnt lgkmcnt(0)
	v_mbcnt_lo_u32_b32 v0, s74, 0
	v_mbcnt_hi_u32_b32 v0, s75, v0
	v_cmp_eq_u32_e32 vcc, 0, v0
	buffer_wbinvl1_vol
	s_and_saveexec_b64 s[72:73], vcc
	s_cbranch_execz .LBB4_772
; %bb.771:                              ;   in Loop: Header=BB4_24 Depth=1
	s_bcnt1_i32_b64 s26, s[74:75]
	v_mov_b32_e32 v2, s26
	ds_add_u64 v0, v[2:3]
	s_trap 2
.LBB4_772:                              ;   in Loop: Header=BB4_24 Depth=1
	s_or_b64 exec, exec, s[72:73]
	s_trap 2
	ds_read_b64 v[6:7], v0
	s_waitcnt lgkmcnt(0)
	buffer_load_dword v0, off, s[0:3], s32 offset:124 ; 4-byte Folded Reload
	s_waitcnt vmcnt(0)
	v_add_co_u32_e32 v42, vcc, v42, v0
	v_addc_co_u32_e32 v43, vcc, 0, v43, vcc
	v_cmp_lt_u64_e32 vcc, v[6:7], v[42:43]
	s_and_saveexec_b64 s[72:73], vcc
	s_cbranch_execz .LBB4_781
; %bb.773:                              ;   in Loop: Header=BB4_24 Depth=1
	s_mov_b32 s26, 0
	s_mov_b64 s[74:75], 0
                                        ; implicit-def: $sgpr76_sgpr77
                                        ; implicit-def: $sgpr78_sgpr79
	s_branch .LBB4_775
.LBB4_774:                              ;   in Loop: Header=BB4_775 Depth=2
	s_or_b64 exec, exec, s[90:91]
	s_and_b64 s[88:89], exec, s[92:93]
	s_or_b64 s[74:75], s[88:89], s[74:75]
	s_andn2_b64 s[76:77], s[76:77], exec
	s_and_b64 s[88:89], s[78:79], exec
	s_or_b64 s[76:77], s[76:77], s[88:89]
	s_andn2_b64 exec, exec, s[74:75]
	s_cbranch_execz .LBB4_779
.LBB4_775:                              ;   Parent Loop BB4_24 Depth=1
                                        ; =>  This Inner Loop Header: Depth=2
	s_add_i32 s26, s26, 1
	s_cmpk_lg_i32 s26, 0x2710
	s_cselect_b64 s[88:89], -1, 0
	s_and_b64 vcc, exec, s[88:89]
	s_cbranch_vccz .LBB4_777
; %bb.776:                              ;   in Loop: Header=BB4_775 Depth=2
	s_mov_b64 s[92:93], -1
	s_or_b64 s[78:79], s[78:79], exec
	s_and_saveexec_b64 s[90:91], s[88:89]
	s_cbranch_execz .LBB4_774
	s_branch .LBB4_778
.LBB4_777:                              ;   in Loop: Header=BB4_775 Depth=2
	s_trap 2
	ds_read_b64 v[6:7], v0
	s_andn2_b64 s[88:89], s[88:89], exec
	s_mov_b32 s26, 0
	s_waitcnt lgkmcnt(0)
	flat_load_dword v0, v[6:7] glc
	s_waitcnt vmcnt(0) lgkmcnt(0)
	buffer_wbinvl1_vol
	v_cmp_eq_u32_e32 vcc, 0, v0
	s_and_b64 s[90:91], vcc, exec
	s_or_b64 s[88:89], s[88:89], s[90:91]
	s_mov_b64 s[92:93], -1
	s_or_b64 s[78:79], s[78:79], exec
	s_and_saveexec_b64 s[90:91], s[88:89]
	s_cbranch_execz .LBB4_774
.LBB4_778:                              ;   in Loop: Header=BB4_775 Depth=2
	s_sleep 1
	s_trap 2
	ds_read_b64 v[6:7], v0
	s_waitcnt lgkmcnt(0)
	s_andn2_b64 s[78:79], s[78:79], exec
	v_cmp_ge_u64_e32 vcc, v[6:7], v[42:43]
	s_orn2_b64 s[92:93], vcc, exec
	s_branch .LBB4_774
.LBB4_779:                              ;   in Loop: Header=BB4_24 Depth=1
	s_or_b64 exec, exec, s[74:75]
	s_and_saveexec_b64 s[74:75], s[76:77]
	s_xor_b64 s[74:75], exec, s[74:75]
	s_cbranch_execz .LBB4_781
; %bb.780:                              ;   in Loop: Header=BB4_24 Depth=1
	v_mov_b32_e32 v0, 1
	ds_write_b32 v0, v0
	s_trap 2
.LBB4_781:                              ;   in Loop: Header=BB4_24 Depth=1
	s_or_b64 exec, exec, s[72:73]
	;;#ASMSTART
	s_wakeup
	;;#ASMEND
.LBB4_782:                              ;   in Loop: Header=BB4_24 Depth=1
	s_or_b64 exec, exec, s[62:63]
.LBB4_783:                              ;   in Loop: Header=BB4_24 Depth=1
	s_andn2_saveexec_b64 s[18:19], s[18:19]
	s_cbranch_execz .LBB4_785
; %bb.784:                              ;   in Loop: Header=BB4_24 Depth=1
	s_waitcnt lgkmcnt(0)
	buffer_wbinvl1_vol
	s_barrier
.LBB4_785:                              ;   in Loop: Header=BB4_24 Depth=1
	s_or_b64 exec, exec, s[18:19]
.LBB4_786:                              ;   in Loop: Header=BB4_24 Depth=1
	s_or_b64 exec, exec, s[16:17]
	s_and_saveexec_b64 s[16:17], s[14:15]
	s_cbranch_execz .LBB4_23
; %bb.787:                              ;   in Loop: Header=BB4_24 Depth=1
	buffer_load_dword v6, off, s[0:3], s32 offset:96 ; 4-byte Folded Reload
	buffer_load_dword v7, off, s[0:3], s32 offset:100 ; 4-byte Folded Reload
	v_add_co_u32_e32 v48, vcc, 1, v48
	v_addc_co_u32_e32 v49, vcc, 0, v49, vcc
	s_waitcnt vmcnt(0)
	flat_store_dwordx2 v[6:7], v[48:49]
	s_branch .LBB4_23
.LBB4_788:
	s_or_b64 exec, exec, s[28:29]
	buffer_load_dword v31, off, s[0:3], s32 offset:240 ; 4-byte Folded Reload
	buffer_load_dword v12, off, s[0:3], s32 offset:244 ; 4-byte Folded Reload
	;; [unrolled: 1-line block ×6, first 2 shown]
	s_or_b64 exec, exec, s[24:25]
	s_and_saveexec_b64 s[6:7], s[22:23]
	s_cbranch_execz .LBB4_20
.LBB4_789:
	s_waitcnt vmcnt(0) lgkmcnt(0)
	flat_store_dwordx2 v[26:27], v[48:49] offset:104
	s_or_b64 exec, exec, s[6:7]
	s_and_saveexec_b64 s[6:7], s[4:5]
	s_cbranch_execz .LBB4_21
.LBB4_790:
	s_waitcnt vmcnt(0) lgkmcnt(0)
	flat_store_dwordx2 v[24:25], v[16:17] offset:104
	s_or_b64 exec, exec, s[6:7]
	v_cmp_ne_u32_e32 vcc, 64, v1
	s_and_saveexec_b64 s[4:5], vcc
	s_cbranch_execz .LBB4_808
.LBB4_791:
	s_waitcnt vmcnt(0)
	v_cmp_ne_u32_sdwa s[6:7], v1, v12 src0_sel:DWORD src1_sel:WORD_0
	s_and_saveexec_b64 s[8:9], s[6:7]
	s_xor_b64 s[6:7], exec, s[8:9]
	s_cbranch_execz .LBB4_806
; %bb.792:
	s_waitcnt lgkmcnt(0)
	v_and_b32_e32 v0, 63, v31
	v_cmp_eq_u32_e32 vcc, 0, v0
	s_and_saveexec_b64 s[8:9], vcc
	s_cbranch_execz .LBB4_805
; %bb.793:
	s_mov_b64 s[12:13], exec
	v_mbcnt_lo_u32_b32 v0, s12, 0
	v_mbcnt_hi_u32_b32 v0, s13, v0
	v_cmp_eq_u32_e32 vcc, 0, v0
	buffer_wbinvl1_vol
	s_and_saveexec_b64 s[10:11], vcc
	s_cbranch_execz .LBB4_795
; %bb.794:
	s_bcnt1_i32_b64 s12, s[12:13]
	v_mov_b32_e32 v2, s12
	v_mov_b32_e32 v3, 0
	ds_add_u64 v0, v[2:3]
	s_trap 2
.LBB4_795:
	s_or_b64 exec, exec, s[10:11]
	v_lshrrev_b32_e32 v0, 6, v1
	s_trap 2
	ds_read_b64 v[2:3], v0
	s_waitcnt lgkmcnt(0)
	v_add_co_u32_e32 v0, vcc, v42, v0
	v_addc_co_u32_e32 v1, vcc, 0, v43, vcc
	v_cmp_lt_u64_e32 vcc, v[2:3], v[0:1]
	s_and_saveexec_b64 s[10:11], vcc
	s_cbranch_execz .LBB4_804
; %bb.796:
	s_mov_b32 s24, 0
	s_mov_b64 s[12:13], 0
                                        ; implicit-def: $sgpr14_sgpr15
                                        ; implicit-def: $sgpr16_sgpr17
	s_branch .LBB4_798
.LBB4_797:                              ;   in Loop: Header=BB4_798 Depth=1
	s_or_b64 exec, exec, s[20:21]
	s_and_b64 s[18:19], exec, s[22:23]
	s_or_b64 s[12:13], s[18:19], s[12:13]
	s_andn2_b64 s[14:15], s[14:15], exec
	s_and_b64 s[18:19], s[16:17], exec
	s_or_b64 s[14:15], s[14:15], s[18:19]
	s_andn2_b64 exec, exec, s[12:13]
	s_cbranch_execz .LBB4_802
.LBB4_798:                              ; =>This Inner Loop Header: Depth=1
	s_add_i32 s24, s24, 1
	s_cmpk_lg_i32 s24, 0x2710
	s_cselect_b64 s[18:19], -1, 0
	s_and_b64 vcc, exec, s[18:19]
	s_cbranch_vccz .LBB4_800
; %bb.799:                              ;   in Loop: Header=BB4_798 Depth=1
	s_mov_b64 s[22:23], -1
	s_or_b64 s[16:17], s[16:17], exec
	s_and_saveexec_b64 s[20:21], s[18:19]
	s_cbranch_execz .LBB4_797
	s_branch .LBB4_801
.LBB4_800:                              ;   in Loop: Header=BB4_798 Depth=1
	s_trap 2
	ds_read_b64 v[2:3], v0
	s_andn2_b64 s[18:19], s[18:19], exec
	s_mov_b32 s24, 0
	s_waitcnt lgkmcnt(0)
	flat_load_dword v2, v[2:3] glc
	s_waitcnt vmcnt(0) lgkmcnt(0)
	buffer_wbinvl1_vol
	v_cmp_eq_u32_e32 vcc, 0, v2
	s_and_b64 s[20:21], vcc, exec
	s_or_b64 s[18:19], s[18:19], s[20:21]
	s_mov_b64 s[22:23], -1
	s_or_b64 s[16:17], s[16:17], exec
	s_and_saveexec_b64 s[20:21], s[18:19]
	s_cbranch_execz .LBB4_797
.LBB4_801:                              ;   in Loop: Header=BB4_798 Depth=1
	s_sleep 1
	s_trap 2
	ds_read_b64 v[2:3], v0
	s_waitcnt lgkmcnt(0)
	s_andn2_b64 s[16:17], s[16:17], exec
	v_cmp_ge_u64_e32 vcc, v[2:3], v[0:1]
	s_orn2_b64 s[22:23], vcc, exec
	s_branch .LBB4_797
.LBB4_802:
	s_or_b64 exec, exec, s[12:13]
	s_and_saveexec_b64 s[12:13], s[14:15]
	s_xor_b64 s[12:13], exec, s[12:13]
	s_cbranch_execz .LBB4_804
; %bb.803:
	v_mov_b32_e32 v0, 1
	ds_write_b32 v0, v0
	s_trap 2
.LBB4_804:
	s_or_b64 exec, exec, s[10:11]
	;;#ASMSTART
	s_wakeup
	;;#ASMEND
.LBB4_805:
	s_or_b64 exec, exec, s[8:9]
.LBB4_806:
	s_andn2_saveexec_b64 s[6:7], s[6:7]
	s_cbranch_execz .LBB4_808
; %bb.807:
	s_waitcnt lgkmcnt(0)
	buffer_wbinvl1_vol
	s_barrier
.LBB4_808:
	s_or_b64 exec, exec, s[4:5]
	buffer_load_dword v62, off, s[0:3], s32 ; 4-byte Folded Reload
	buffer_load_dword v61, off, s[0:3], s32 offset:4 ; 4-byte Folded Reload
	buffer_load_dword v60, off, s[0:3], s32 offset:8 ; 4-byte Folded Reload
	;; [unrolled: 1-line block ×14, first 2 shown]
	v_readlane_b32 s30, v63, 12
	v_readlane_b32 s31, v63, 13
	;; [unrolled: 1-line block ×14, first 2 shown]
	s_or_saveexec_b64 s[4:5], -1
	buffer_load_dword v63, off, s[0:3], s32 offset:264 ; 4-byte Folded Reload
	s_mov_b64 exec, s[4:5]
	s_waitcnt vmcnt(0) lgkmcnt(0)
	s_setpc_b64 s[30:31]
.Lfunc_end4:
	.size	_ZN12_GLOBAL__N_17runRingI14__hip_fp8_e5m28FuncProdIS1_E7ProtoLLLi0ELi4ELi0EEEviiP15ncclDevWorkColl, .Lfunc_end4-_ZN12_GLOBAL__N_17runRingI14__hip_fp8_e5m28FuncProdIS1_E7ProtoLLLi0ELi4ELi0EEEviiP15ncclDevWorkColl
                                        ; -- End function
	.set .L_ZN12_GLOBAL__N_17runRingI14__hip_fp8_e5m28FuncProdIS1_E7ProtoLLLi0ELi4ELi0EEEviiP15ncclDevWorkColl.num_vgpr, 64
	.set .L_ZN12_GLOBAL__N_17runRingI14__hip_fp8_e5m28FuncProdIS1_E7ProtoLLLi0ELi4ELi0EEEviiP15ncclDevWorkColl.num_agpr, 0
	.set .L_ZN12_GLOBAL__N_17runRingI14__hip_fp8_e5m28FuncProdIS1_E7ProtoLLLi0ELi4ELi0EEEviiP15ncclDevWorkColl.numbered_sgpr, 96
	.set .L_ZN12_GLOBAL__N_17runRingI14__hip_fp8_e5m28FuncProdIS1_E7ProtoLLLi0ELi4ELi0EEEviiP15ncclDevWorkColl.num_named_barrier, 0
	.set .L_ZN12_GLOBAL__N_17runRingI14__hip_fp8_e5m28FuncProdIS1_E7ProtoLLLi0ELi4ELi0EEEviiP15ncclDevWorkColl.private_seg_size, 272
	.set .L_ZN12_GLOBAL__N_17runRingI14__hip_fp8_e5m28FuncProdIS1_E7ProtoLLLi0ELi4ELi0EEEviiP15ncclDevWorkColl.uses_vcc, 1
	.set .L_ZN12_GLOBAL__N_17runRingI14__hip_fp8_e5m28FuncProdIS1_E7ProtoLLLi0ELi4ELi0EEEviiP15ncclDevWorkColl.uses_flat_scratch, 0
	.set .L_ZN12_GLOBAL__N_17runRingI14__hip_fp8_e5m28FuncProdIS1_E7ProtoLLLi0ELi4ELi0EEEviiP15ncclDevWorkColl.has_dyn_sized_stack, 0
	.set .L_ZN12_GLOBAL__N_17runRingI14__hip_fp8_e5m28FuncProdIS1_E7ProtoLLLi0ELi4ELi0EEEviiP15ncclDevWorkColl.has_recursion, 0
	.set .L_ZN12_GLOBAL__N_17runRingI14__hip_fp8_e5m28FuncProdIS1_E7ProtoLLLi0ELi4ELi0EEEviiP15ncclDevWorkColl.has_indirect_call, 0
	.section	.AMDGPU.csdata,"",@progbits
; Function info:
; codeLenInByte = 22908
; TotalNumSgprs: 100
; NumVgprs: 64
; ScratchSize: 272
; MemoryBound: 0
	.text
	.p2align	2                               ; -- Begin function _Z51ncclDevFunc_ReduceScatter_RING_LL_Prod_f8e5m2_0_0_4v
	.type	_Z51ncclDevFunc_ReduceScatter_RING_LL_Prod_f8e5m2_0_0_4v,@function
_Z51ncclDevFunc_ReduceScatter_RING_LL_Prod_f8e5m2_0_0_4v: ; @_Z51ncclDevFunc_ReduceScatter_RING_LL_Prod_f8e5m2_0_0_4v
; %bb.0:
	s_waitcnt vmcnt(0) expcnt(0) lgkmcnt(0)
	s_mov_b32 s4, s33
	s_mov_b32 s33, s32
	s_or_saveexec_b64 s[6:7], -1
	buffer_store_dword v43, off, s[0:3], s33 offset:16 ; 4-byte Folded Spill
	s_mov_b64 exec, s[6:7]
	v_writelane_b32 v43, s4, 20
	s_addk_i32 s32, 0x800
	buffer_store_dword v40, off, s[0:3], s33 offset:12 ; 4-byte Folded Spill
	buffer_store_dword v41, off, s[0:3], s33 offset:8 ; 4-byte Folded Spill
	;; [unrolled: 1-line block ×3, first 2 shown]
	buffer_store_dword v63, off, s[0:3], s33 ; 4-byte Folded Spill
	v_writelane_b32 v43, s34, 0
	v_writelane_b32 v43, s35, 1
	;; [unrolled: 1-line block ×20, first 2 shown]
	s_trap 2
	ds_read_b32 v0, v0
	v_mov_b32_e32 v40, v31
	s_mov_b32 s64, s12
	s_mov_b64 s[54:55], s[8:9]
	s_waitcnt lgkmcnt(0)
	v_cmp_gt_i32_e32 vcc, 1, v0
	s_cbranch_vccnz .LBB5_8
; %bb.1:
	s_mov_b32 s65, 0
	v_and_b32_e32 v41, 0x3ff, v40
	v_mov_b32_e32 v42, 6
	s_branch .LBB5_3
.LBB5_2:                                ;   in Loop: Header=BB5_3 Depth=1
	s_or_b64 exec, exec, s[66:67]
	s_trap 2
	ds_read_b32 v0, v0
	s_add_i32 s65, s65, 1
	s_waitcnt lgkmcnt(0)
	v_cmp_lt_i32_e32 vcc, s65, v0
	s_cbranch_vccz .LBB5_8
.LBB5_3:                                ; =>This Inner Loop Header: Depth=1
	s_trap 2
	ds_read_b32 v0, v0
	s_cmp_eq_u32 s65, 0
	s_cbranch_scc1 .LBB5_6
; %bb.4:                                ;   in Loop: Header=BB5_3 Depth=1
	s_trap 2
	s_waitcnt lgkmcnt(0)
	ds_read_b32 v1, v0
	s_waitcnt lgkmcnt(0)
	v_xor_b32_e32 v1, v1, v0
	v_and_b32_e32 v1, 0xff0000, v1
	v_cmp_eq_u32_e32 vcc, 0, v1
	s_cbranch_vccnz .LBB5_6
; %bb.5:                                ;   in Loop: Header=BB5_3 Depth=1
	s_waitcnt vmcnt(0)
	s_barrier
	ds_read_b32 v0, v0
.LBB5_6:                                ;   in Loop: Header=BB5_3 Depth=1
	s_waitcnt lgkmcnt(0)
	v_lshlrev_b32_sdwa v1, v42, v0 dst_sel:DWORD dst_unused:UNUSED_PAD src0_sel:DWORD src1_sel:BYTE_2
	v_cmp_lt_u32_e32 vcc, v41, v1
	s_and_saveexec_b64 s[66:67], vcc
	s_cbranch_execz .LBB5_2
; %bb.7:                                ;   in Loop: Header=BB5_3 Depth=1
	s_mov_b64 s[4:5], src_shared_base
	s_getpc_b64 s[6:7]
	s_add_u32 s6, s6, _ZN12_GLOBAL__N_17runRingI14__hip_fp8_e5m28FuncProdIS1_E7ProtoLLLi0ELi4ELi0EEEviiP15ncclDevWorkColl@rel32@lo+4
	s_addc_u32 s7, s7, _ZN12_GLOBAL__N_17runRingI14__hip_fp8_e5m28FuncProdIS1_E7ProtoLLLi0ELi4ELi0EEEviiP15ncclDevWorkColl@rel32@hi+12
	s_mov_b64 s[8:9], s[54:55]
	s_mov_b32 s12, s64
	v_mov_b32_e32 v31, v40
	v_mov_b32_e32 v0, v41
	;; [unrolled: 1-line block ×3, first 2 shown]
	s_swappc_b64 s[30:31], s[6:7]
	s_branch .LBB5_2
.LBB5_8:
	buffer_load_dword v63, off, s[0:3], s33 ; 4-byte Folded Reload
	buffer_load_dword v42, off, s[0:3], s33 offset:4 ; 4-byte Folded Reload
	buffer_load_dword v41, off, s[0:3], s33 offset:8 ; 4-byte Folded Reload
	;; [unrolled: 1-line block ×3, first 2 shown]
	v_readlane_b32 s30, v43, 18
	v_readlane_b32 s31, v43, 19
	;; [unrolled: 1-line block ×20, first 2 shown]
	s_mov_b32 s32, s33
	v_readlane_b32 s4, v43, 20
	s_or_saveexec_b64 s[6:7], -1
	buffer_load_dword v43, off, s[0:3], s33 offset:16 ; 4-byte Folded Reload
	s_mov_b64 exec, s[6:7]
	s_mov_b32 s33, s4
	s_waitcnt vmcnt(0)
	s_setpc_b64 s[30:31]
.Lfunc_end5:
	.size	_Z51ncclDevFunc_ReduceScatter_RING_LL_Prod_f8e5m2_0_0_4v, .Lfunc_end5-_Z51ncclDevFunc_ReduceScatter_RING_LL_Prod_f8e5m2_0_0_4v
                                        ; -- End function
	.set .L_Z51ncclDevFunc_ReduceScatter_RING_LL_Prod_f8e5m2_0_0_4v.num_vgpr, max(64, .L_ZN12_GLOBAL__N_17runRingI14__hip_fp8_e5m28FuncProdIS1_E7ProtoLLLi0ELi4ELi0EEEviiP15ncclDevWorkColl.num_vgpr)
	.set .L_Z51ncclDevFunc_ReduceScatter_RING_LL_Prod_f8e5m2_0_0_4v.num_agpr, max(0, .L_ZN12_GLOBAL__N_17runRingI14__hip_fp8_e5m28FuncProdIS1_E7ProtoLLLi0ELi4ELi0EEEviiP15ncclDevWorkColl.num_agpr)
	.set .L_Z51ncclDevFunc_ReduceScatter_RING_LL_Prod_f8e5m2_0_0_4v.numbered_sgpr, max(68, .L_ZN12_GLOBAL__N_17runRingI14__hip_fp8_e5m28FuncProdIS1_E7ProtoLLLi0ELi4ELi0EEEviiP15ncclDevWorkColl.numbered_sgpr)
	.set .L_Z51ncclDevFunc_ReduceScatter_RING_LL_Prod_f8e5m2_0_0_4v.num_named_barrier, max(0, .L_ZN12_GLOBAL__N_17runRingI14__hip_fp8_e5m28FuncProdIS1_E7ProtoLLLi0ELi4ELi0EEEviiP15ncclDevWorkColl.num_named_barrier)
	.set .L_Z51ncclDevFunc_ReduceScatter_RING_LL_Prod_f8e5m2_0_0_4v.private_seg_size, 32+max(.L_ZN12_GLOBAL__N_17runRingI14__hip_fp8_e5m28FuncProdIS1_E7ProtoLLLi0ELi4ELi0EEEviiP15ncclDevWorkColl.private_seg_size)
	.set .L_Z51ncclDevFunc_ReduceScatter_RING_LL_Prod_f8e5m2_0_0_4v.uses_vcc, or(1, .L_ZN12_GLOBAL__N_17runRingI14__hip_fp8_e5m28FuncProdIS1_E7ProtoLLLi0ELi4ELi0EEEviiP15ncclDevWorkColl.uses_vcc)
	.set .L_Z51ncclDevFunc_ReduceScatter_RING_LL_Prod_f8e5m2_0_0_4v.uses_flat_scratch, or(0, .L_ZN12_GLOBAL__N_17runRingI14__hip_fp8_e5m28FuncProdIS1_E7ProtoLLLi0ELi4ELi0EEEviiP15ncclDevWorkColl.uses_flat_scratch)
	.set .L_Z51ncclDevFunc_ReduceScatter_RING_LL_Prod_f8e5m2_0_0_4v.has_dyn_sized_stack, or(0, .L_ZN12_GLOBAL__N_17runRingI14__hip_fp8_e5m28FuncProdIS1_E7ProtoLLLi0ELi4ELi0EEEviiP15ncclDevWorkColl.has_dyn_sized_stack)
	.set .L_Z51ncclDevFunc_ReduceScatter_RING_LL_Prod_f8e5m2_0_0_4v.has_recursion, or(1, .L_ZN12_GLOBAL__N_17runRingI14__hip_fp8_e5m28FuncProdIS1_E7ProtoLLLi0ELi4ELi0EEEviiP15ncclDevWorkColl.has_recursion)
	.set .L_Z51ncclDevFunc_ReduceScatter_RING_LL_Prod_f8e5m2_0_0_4v.has_indirect_call, or(0, .L_ZN12_GLOBAL__N_17runRingI14__hip_fp8_e5m28FuncProdIS1_E7ProtoLLLi0ELi4ELi0EEEviiP15ncclDevWorkColl.has_indirect_call)
	.section	.AMDGPU.csdata,"",@progbits
; Function info:
; codeLenInByte = 704
; TotalNumSgprs: 100
; NumVgprs: 64
; ScratchSize: 304
; MemoryBound: 0
	.section	.AMDGPU.gpr_maximums,"",@progbits
	.set amdgpu.max_num_vgpr, 64
	.set amdgpu.max_num_agpr, 0
	.set amdgpu.max_num_sgpr, 96
	.section	.AMDGPU.csdata,"",@progbits
	.type	__hip_cuid_767004448bd4e1fb,@object ; @__hip_cuid_767004448bd4e1fb
	.section	.bss,"aw",@nobits
	.globl	__hip_cuid_767004448bd4e1fb
__hip_cuid_767004448bd4e1fb:
	.byte	0                               ; 0x0
	.size	__hip_cuid_767004448bd4e1fb, 1

	.ident	"AMD clang version 22.0.0git (https://github.com/RadeonOpenCompute/llvm-project roc-7.2.4 26084 f58b06dce1f9c15707c5f808fd002e18c2accf7e)"
	.section	".note.GNU-stack","",@progbits
	.addrsig
	.addrsig_sym _Z51ncclDevFunc_ReduceScatter_RING_LL_Prod_f8e5m2_0_0_1v
	.addrsig_sym _Z51ncclDevFunc_ReduceScatter_RING_LL_Prod_f8e5m2_0_0_2v
	.addrsig_sym _Z51ncclDevFunc_ReduceScatter_RING_LL_Prod_f8e5m2_0_0_4v
	.addrsig_sym ncclShmem
	.addrsig_sym __hip_cuid_767004448bd4e1fb
	.amdgpu_metadata
---
amdhsa.kernels:  []
amdhsa.target:   amdgcn-amd-amdhsa--gfx906
amdhsa.version:
  - 1
  - 2
...

	.end_amdgpu_metadata
